;; amdgpu-corpus repo=ROCm/rocFFT kind=compiled arch=gfx1030 opt=O3
	.text
	.amdgcn_target "amdgcn-amd-amdhsa--gfx1030"
	.amdhsa_code_object_version 6
	.protected	fft_rtc_back_len289_factors_17_17_wgs_119_tpt_17_dp_ip_CI_sbcc_twdbase6_3step_dirReg_intrinsicRead ; -- Begin function fft_rtc_back_len289_factors_17_17_wgs_119_tpt_17_dp_ip_CI_sbcc_twdbase6_3step_dirReg_intrinsicRead
	.globl	fft_rtc_back_len289_factors_17_17_wgs_119_tpt_17_dp_ip_CI_sbcc_twdbase6_3step_dirReg_intrinsicRead
	.p2align	8
	.type	fft_rtc_back_len289_factors_17_17_wgs_119_tpt_17_dp_ip_CI_sbcc_twdbase6_3step_dirReg_intrinsicRead,@function
fft_rtc_back_len289_factors_17_17_wgs_119_tpt_17_dp_ip_CI_sbcc_twdbase6_3step_dirReg_intrinsicRead: ; @fft_rtc_back_len289_factors_17_17_wgs_119_tpt_17_dp_ip_CI_sbcc_twdbase6_3step_dirReg_intrinsicRead
; %bb.0:
	s_clause 0x2
	s_load_dwordx2 s[16:17], s[4:5], 0x58
	s_load_dwordx2 s[20:21], s[4:5], 0x0
	s_load_dwordx8 s[8:15], s[4:5], 0x8
	s_mov_b64 s[62:63], s[2:3]
	s_mov_b64 s[60:61], s[0:1]
	v_mov_b32_e32 v255, v0
	s_add_u32 s60, s60, s7
	s_addc_u32 s61, s61, 0
	s_mov_b32 s1, exec_lo
	v_cmpx_gt_u32_e32 0xc0, v255
	s_cbranch_execz .LBB0_3
; %bb.1:
	v_lshlrev_b32_e32 v4, 4, v255
	v_add_co_u32 v0, s0, 0xffffff89, v255
	v_add_co_ci_u32_e64 v1, null, 0, -1, s0
	s_waitcnt lgkmcnt(0)
	v_add_co_u32 v2, s0, s8, v4
	v_add_co_ci_u32_e64 v3, null, s9, 0, s0
	v_add3_u32 v4, v4, 0, 0x7e70
	s_mov_b32 s2, 0
	.p2align	6
.LBB0_2:                                ; =>This Inner Loop Header: Depth=1
	global_load_dwordx4 v[5:8], v[2:3], off
	v_add_co_u32 v0, vcc_lo, 0x77, v0
	v_add_co_ci_u32_e32 v1, vcc_lo, 0, v1, vcc_lo
	v_add_co_u32 v2, vcc_lo, 0x770, v2
	v_add_co_ci_u32_e32 v3, vcc_lo, 0, v3, vcc_lo
	v_cmp_lt_u64_e64 s0, 0x48, v[0:1]
	s_or_b32 s2, s0, s2
	s_waitcnt vmcnt(0)
	ds_write2_b64 v4, v[5:6], v[7:8] offset1:1
	v_add_nc_u32_e32 v4, 0x770, v4
	s_andn2_b32 exec_lo, exec_lo, s2
	s_cbranch_execnz .LBB0_2
.LBB0_3:
	s_or_b32 exec_lo, exec_lo, s1
	s_waitcnt lgkmcnt(0)
	s_load_dwordx2 s[8:9], s[12:13], 0x8
	s_waitcnt lgkmcnt(0)
	s_add_u32 s0, s8, -1
	s_addc_u32 s1, s9, -1
	s_add_u32 s2, 0, 0x92481000
	s_addc_u32 s3, 0, 0x64
	s_mul_hi_u32 s5, s2, -7
	s_add_i32 s3, s3, 0x249248c0
	s_sub_i32 s5, s5, s2
	s_mul_i32 s18, s3, -7
	s_mul_i32 s4, s2, -7
	s_add_i32 s5, s5, s18
	s_mul_hi_u32 s7, s2, s4
	s_mul_i32 s22, s2, s5
	s_mul_hi_u32 s18, s2, s5
	s_mul_hi_u32 s19, s3, s4
	s_mul_i32 s4, s3, s4
	s_add_u32 s7, s7, s22
	s_addc_u32 s18, 0, s18
	s_mul_hi_u32 s23, s3, s5
	s_add_u32 s4, s7, s4
	s_mul_i32 s5, s3, s5
	s_addc_u32 s4, s18, s19
	s_addc_u32 s7, s23, 0
	s_add_u32 s4, s4, s5
	v_add_co_u32 v0, s2, s2, s4
	s_addc_u32 s4, 0, s7
	s_cmp_lg_u32 s2, 0
	s_addc_u32 s2, s3, s4
	v_readfirstlane_b32 s3, v0
	s_mul_i32 s5, s0, s2
	s_mul_hi_u32 s4, s0, s2
	s_mul_hi_u32 s7, s1, s2
	s_mul_i32 s2, s1, s2
	s_mul_hi_u32 s18, s0, s3
	s_mul_hi_u32 s19, s1, s3
	s_mul_i32 s3, s1, s3
	s_add_u32 s5, s18, s5
	s_addc_u32 s4, 0, s4
	s_add_u32 s3, s5, s3
	s_addc_u32 s3, s4, s19
	s_addc_u32 s4, s7, 0
	s_add_u32 s2, s3, s2
	s_addc_u32 s3, 0, s4
	s_mul_i32 s5, s2, 7
	s_add_u32 s4, s2, 1
	v_sub_co_u32 v0, s0, s0, s5
	s_mul_hi_u32 s5, s2, 7
	s_addc_u32 s7, s3, 0
	s_mul_i32 s18, s3, 7
	v_sub_co_u32 v1, s19, v0, 7
	s_add_u32 s22, s2, 2
	s_addc_u32 s23, s3, 0
	s_add_i32 s5, s5, s18
	s_cmp_lg_u32 s0, 0
	v_readfirstlane_b32 s0, v1
	s_subb_u32 s1, s1, s5
	s_cmp_lg_u32 s19, 0
	s_mov_b64 s[18:19], 0
	s_subb_u32 s5, s1, 0
	s_cmp_gt_u32 s0, 6
	s_cselect_b32 s0, -1, 0
	s_cmp_eq_u32 s5, 0
	v_readfirstlane_b32 s5, v0
	s_cselect_b32 s0, s0, -1
	s_cmp_lg_u32 s0, 0
	s_cselect_b32 s0, s22, s4
	s_cselect_b32 s4, s23, s7
	s_cmp_gt_u32 s5, 6
	s_mov_b32 s7, 0
	s_cselect_b32 s5, -1, 0
	s_cmp_eq_u32 s1, 0
	s_cselect_b32 s1, s5, -1
	s_cmp_lg_u32 s1, 0
	s_cselect_b32 s0, s0, s2
	s_cselect_b32 s1, s4, s3
	s_add_u32 s4, s0, 1
	s_addc_u32 s5, s1, 0
	v_cmp_lt_u64_e64 s0, s[6:7], s[4:5]
	s_and_b32 vcc_lo, exec_lo, s0
	s_cbranch_vccnz .LBB0_5
; %bb.4:
	v_cvt_f32_u32_e32 v0, s4
	s_sub_i32 s1, 0, s4
	s_mov_b32 s19, s7
	v_rcp_iflag_f32_e32 v0, v0
	v_mul_f32_e32 v0, 0x4f7ffffe, v0
	v_cvt_u32_f32_e32 v0, v0
	v_readfirstlane_b32 s0, v0
	s_mul_i32 s1, s1, s0
	s_mul_hi_u32 s1, s0, s1
	s_add_i32 s0, s0, s1
	s_mul_hi_u32 s0, s6, s0
	s_mul_i32 s1, s0, s4
	s_add_i32 s2, s0, 1
	s_sub_i32 s1, s6, s1
	s_sub_i32 s3, s1, s4
	s_cmp_ge_u32 s1, s4
	s_cselect_b32 s0, s2, s0
	s_cselect_b32 s1, s3, s1
	s_add_i32 s2, s0, 1
	s_cmp_ge_u32 s1, s4
	s_cselect_b32 s18, s2, s0
.LBB0_5:
	s_load_dwordx4 s[0:3], s[14:15], 0x0
	s_mul_i32 s22, s18, s5
	s_mul_hi_u32 s23, s18, s4
	s_mul_i32 s24, s18, s4
	s_add_i32 s23, s23, s22
	s_sub_u32 s34, s6, s24
	s_subb_u32 s22, 0, s23
	s_mul_hi_u32 s33, s34, 7
	s_mul_i32 s22, s22, 7
	v_cmp_lt_u64_e64 s25, s[10:11], 3
	s_mul_i32 s34, s34, 7
	s_add_i32 s33, s33, s22
	s_and_b32 vcc_lo, exec_lo, s25
	s_waitcnt lgkmcnt(0)
	s_mul_i32 s22, s2, s33
	s_mul_hi_u32 s23, s2, s34
	s_mul_i32 s24, s3, s34
	s_add_i32 s22, s23, s22
	s_mul_i32 s35, s2, s34
	s_add_i32 s36, s22, s24
	s_cbranch_vccnz .LBB0_15
; %bb.6:
	s_add_u32 s22, s14, 16
	s_addc_u32 s23, s15, 0
	s_add_u32 s12, s12, 16
	s_addc_u32 s13, s13, 0
	s_mov_b64 s[24:25], 2
	s_mov_b32 s26, 0
.LBB0_7:                                ; =>This Inner Loop Header: Depth=1
	s_load_dwordx2 s[28:29], s[12:13], 0x0
	s_waitcnt lgkmcnt(0)
	s_or_b64 s[30:31], s[18:19], s[28:29]
	s_mov_b32 s27, s31
                                        ; implicit-def: $sgpr30_sgpr31
	s_cmp_lg_u64 s[26:27], 0
	s_mov_b32 s27, -1
	s_cbranch_scc0 .LBB0_9
; %bb.8:                                ;   in Loop: Header=BB0_7 Depth=1
	v_cvt_f32_u32_e32 v0, s28
	v_cvt_f32_u32_e32 v1, s29
	s_sub_u32 s31, 0, s28
	s_subb_u32 s37, 0, s29
	v_fmac_f32_e32 v0, 0x4f800000, v1
	v_rcp_f32_e32 v0, v0
	v_mul_f32_e32 v0, 0x5f7ffffc, v0
	v_mul_f32_e32 v1, 0x2f800000, v0
	v_trunc_f32_e32 v1, v1
	v_fmac_f32_e32 v0, 0xcf800000, v1
	v_cvt_u32_f32_e32 v1, v1
	v_cvt_u32_f32_e32 v0, v0
	v_readfirstlane_b32 s27, v1
	v_readfirstlane_b32 s30, v0
	s_mul_i32 s38, s31, s27
	s_mul_hi_u32 s40, s31, s30
	s_mul_i32 s39, s37, s30
	s_add_i32 s38, s40, s38
	s_mul_i32 s41, s31, s30
	s_add_i32 s38, s38, s39
	s_mul_hi_u32 s40, s30, s41
	s_mul_hi_u32 s42, s27, s41
	s_mul_i32 s39, s27, s41
	s_mul_hi_u32 s41, s30, s38
	s_mul_i32 s30, s30, s38
	s_mul_hi_u32 s43, s27, s38
	s_add_u32 s30, s40, s30
	s_addc_u32 s40, 0, s41
	s_add_u32 s30, s30, s39
	s_mul_i32 s38, s27, s38
	s_addc_u32 s30, s40, s42
	s_addc_u32 s39, s43, 0
	s_add_u32 s30, s30, s38
	s_addc_u32 s38, 0, s39
	v_add_co_u32 v0, s30, v0, s30
	s_cmp_lg_u32 s30, 0
	s_addc_u32 s27, s27, s38
	v_readfirstlane_b32 s30, v0
	s_mul_i32 s38, s31, s27
	s_mul_hi_u32 s39, s31, s30
	s_mul_i32 s37, s37, s30
	s_add_i32 s38, s39, s38
	s_mul_i32 s31, s31, s30
	s_add_i32 s38, s38, s37
	s_mul_hi_u32 s39, s27, s31
	s_mul_i32 s40, s27, s31
	s_mul_hi_u32 s31, s30, s31
	s_mul_hi_u32 s41, s30, s38
	s_mul_i32 s30, s30, s38
	s_mul_hi_u32 s37, s27, s38
	s_add_u32 s30, s31, s30
	s_addc_u32 s31, 0, s41
	s_add_u32 s30, s30, s40
	s_mul_i32 s38, s27, s38
	s_addc_u32 s30, s31, s39
	s_addc_u32 s31, s37, 0
	s_add_u32 s30, s30, s38
	s_addc_u32 s31, 0, s31
	v_add_co_u32 v0, s30, v0, s30
	s_cmp_lg_u32 s30, 0
	s_addc_u32 s27, s27, s31
	v_readfirstlane_b32 s30, v0
	s_mul_i32 s37, s18, s27
	s_mul_hi_u32 s31, s18, s27
	s_mul_hi_u32 s38, s19, s27
	s_mul_i32 s27, s19, s27
	s_mul_hi_u32 s39, s18, s30
	s_mul_hi_u32 s40, s19, s30
	s_mul_i32 s30, s19, s30
	s_add_u32 s37, s39, s37
	s_addc_u32 s31, 0, s31
	s_add_u32 s30, s37, s30
	s_addc_u32 s30, s31, s40
	s_addc_u32 s31, s38, 0
	s_add_u32 s30, s30, s27
	s_addc_u32 s31, 0, s31
	s_mul_hi_u32 s27, s28, s30
	s_mul_i32 s38, s28, s31
	s_mul_i32 s39, s28, s30
	s_add_i32 s27, s27, s38
	v_sub_co_u32 v0, s38, s18, s39
	s_mul_i32 s37, s29, s30
	s_add_i32 s27, s27, s37
	v_sub_co_u32 v1, s39, v0, s28
	s_sub_i32 s37, s19, s27
	s_cmp_lg_u32 s38, 0
	s_subb_u32 s37, s37, s29
	s_cmp_lg_u32 s39, 0
	v_readfirstlane_b32 s39, v1
	s_subb_u32 s37, s37, 0
	s_cmp_ge_u32 s37, s29
	s_cselect_b32 s40, -1, 0
	s_cmp_ge_u32 s39, s28
	s_cselect_b32 s39, -1, 0
	s_cmp_eq_u32 s37, s29
	s_cselect_b32 s37, s39, s40
	s_add_u32 s39, s30, 1
	s_addc_u32 s40, s31, 0
	s_add_u32 s41, s30, 2
	s_addc_u32 s42, s31, 0
	s_cmp_lg_u32 s37, 0
	s_cselect_b32 s37, s41, s39
	s_cselect_b32 s39, s42, s40
	s_cmp_lg_u32 s38, 0
	v_readfirstlane_b32 s38, v0
	s_subb_u32 s27, s19, s27
	s_cmp_ge_u32 s27, s29
	s_cselect_b32 s40, -1, 0
	s_cmp_ge_u32 s38, s28
	s_cselect_b32 s38, -1, 0
	s_cmp_eq_u32 s27, s29
	s_cselect_b32 s27, s38, s40
	s_cmp_lg_u32 s27, 0
	s_mov_b32 s27, 0
	s_cselect_b32 s31, s39, s31
	s_cselect_b32 s30, s37, s30
.LBB0_9:                                ;   in Loop: Header=BB0_7 Depth=1
	s_andn2_b32 vcc_lo, exec_lo, s27
	s_cbranch_vccnz .LBB0_11
; %bb.10:                               ;   in Loop: Header=BB0_7 Depth=1
	v_cvt_f32_u32_e32 v0, s28
	s_sub_i32 s30, 0, s28
	v_rcp_iflag_f32_e32 v0, v0
	v_mul_f32_e32 v0, 0x4f7ffffe, v0
	v_cvt_u32_f32_e32 v0, v0
	v_readfirstlane_b32 s27, v0
	s_mul_i32 s30, s30, s27
	s_mul_hi_u32 s30, s27, s30
	s_add_i32 s27, s27, s30
	s_mul_hi_u32 s27, s18, s27
	s_mul_i32 s30, s27, s28
	s_add_i32 s31, s27, 1
	s_sub_i32 s30, s18, s30
	s_sub_i32 s37, s30, s28
	s_cmp_ge_u32 s30, s28
	s_cselect_b32 s27, s31, s27
	s_cselect_b32 s30, s37, s30
	s_add_i32 s31, s27, 1
	s_cmp_ge_u32 s30, s28
	s_cselect_b32 s30, s31, s27
	s_mov_b32 s31, s26
.LBB0_11:                               ;   in Loop: Header=BB0_7 Depth=1
	s_load_dwordx2 s[38:39], s[22:23], 0x0
	s_mul_i32 s5, s28, s5
	s_mul_hi_u32 s27, s28, s4
	s_mul_i32 s37, s29, s4
	s_mul_i32 s29, s30, s29
	s_mul_hi_u32 s40, s30, s28
	s_mul_i32 s41, s31, s28
	s_add_i32 s5, s27, s5
	s_add_i32 s27, s40, s29
	s_mul_i32 s42, s30, s28
	s_add_i32 s5, s5, s37
	s_add_i32 s27, s27, s41
	s_sub_u32 s18, s18, s42
	s_subb_u32 s19, s19, s27
	s_mul_i32 s4, s28, s4
	s_waitcnt lgkmcnt(0)
	s_mul_i32 s19, s38, s19
	s_mul_hi_u32 s27, s38, s18
	s_add_i32 s19, s27, s19
	s_mul_i32 s27, s39, s18
	s_mul_i32 s18, s38, s18
	s_add_i32 s19, s19, s27
	s_add_u32 s35, s18, s35
	s_addc_u32 s36, s19, s36
	s_add_u32 s24, s24, 1
	s_addc_u32 s25, s25, 0
	s_add_u32 s22, s22, 8
	v_cmp_ge_u64_e64 s18, s[24:25], s[10:11]
	s_addc_u32 s23, s23, 0
	s_add_u32 s12, s12, 8
	s_addc_u32 s13, s13, 0
	s_and_b32 vcc_lo, exec_lo, s18
	s_cbranch_vccnz .LBB0_13
; %bb.12:                               ;   in Loop: Header=BB0_7 Depth=1
	s_mov_b64 s[18:19], s[30:31]
	s_branch .LBB0_7
.LBB0_13:
	v_cmp_lt_u64_e64 s5, s[6:7], s[4:5]
	s_mov_b64 s[18:19], 0
	s_and_b32 vcc_lo, exec_lo, s5
	s_cbranch_vccnz .LBB0_15
; %bb.14:
	v_cvt_f32_u32_e32 v0, s4
	s_sub_i32 s7, 0, s4
	v_rcp_iflag_f32_e32 v0, v0
	v_mul_f32_e32 v0, 0x4f7ffffe, v0
	v_cvt_u32_f32_e32 v0, v0
	v_readfirstlane_b32 s5, v0
	s_mul_i32 s7, s7, s5
	s_mul_hi_u32 s7, s5, s7
	s_add_i32 s5, s5, s7
	s_mul_hi_u32 s5, s6, s5
	s_mul_i32 s7, s5, s4
	s_sub_i32 s6, s6, s7
	s_add_i32 s7, s5, 1
	s_sub_i32 s12, s6, s4
	s_cmp_ge_u32 s6, s4
	s_cselect_b32 s5, s7, s5
	s_cselect_b32 s6, s12, s6
	s_add_i32 s7, s5, 1
	s_cmp_ge_u32 s6, s4
	s_cselect_b32 s18, s7, s5
.LBB0_15:
	s_lshl_b64 s[4:5], s[10:11], 3
	v_mul_hi_u32 v0, 0x24924925, v255
	s_add_u32 s4, s14, s4
	s_addc_u32 s5, s15, s5
	s_mov_b32 s19, 0x31014000
	s_load_dwordx2 s[4:5], s[4:5], 0x0
	s_mov_b32 s44, 0x5d8e7cdc
	s_mov_b32 s50, 0x2a9d6da3
	;; [unrolled: 1-line block ×3, first 2 shown]
	v_mul_u32_u24_e32 v1, 7, v0
	v_add_nc_u32_e32 v2, 17, v0
	v_add_nc_u32_e32 v6, 34, v0
	;; [unrolled: 1-line block ×4, first 2 shown]
	v_sub_nc_u32_e32 v74, v255, v1
	v_mul_lo_u32 v1, s0, v0
	v_mul_lo_u32 v2, s0, v2
	;; [unrolled: 1-line block ×4, first 2 shown]
	v_mad_u64_u32 v[72:73], null, s2, v74, 0
	v_add_co_u32 v65, s6, s34, v74
	v_add_co_ci_u32_e64 v66, null, s33, 0, s6
	s_waitcnt lgkmcnt(0)
	s_mul_i32 s2, s5, s18
	s_mul_hi_u32 s5, s4, s18
	s_mul_i32 s4, s4, s18
	s_add_i32 s5, s5, s2
	s_add_u32 s4, s4, s35
	s_addc_u32 s5, s5, s36
	s_add_u32 s6, s34, 7
	s_addc_u32 s7, s33, 0
	v_cmp_gt_u64_e32 vcc_lo, s[8:9], v[65:66]
	v_cmp_le_u64_e64 s2, s[6:7], s[8:9]
	v_add_lshl_u32 v1, v72, v1, 4
	v_add_lshl_u32 v2, v72, v2, 4
	s_mov_b32 s18, -2
	v_add_lshl_u32 v7, v72, v7, 4
	v_add_lshl_u32 v8, v72, v8, 4
	s_or_b32 vcc_lo, s2, vcc_lo
	s_lshl_b32 s2, s4, 4
	v_cndmask_b32_e32 v1, -1, v1, vcc_lo
	v_cndmask_b32_e32 v5, -1, v2, vcc_lo
	v_cndmask_b32_e32 v7, -1, v7, vcc_lo
	v_cndmask_b32_e32 v8, -1, v8, vcc_lo
	s_clause 0x1
	buffer_load_dwordx4 v[1:4], v1, s[16:19], s2 offen
	buffer_load_dwordx4 v[13:16], v5, s[16:19], s2 offen
	v_mul_lo_u32 v5, s0, v6
	v_add_nc_u32_e32 v6, 51, v0
	v_add_nc_u32_e32 v10, 0xaa, v0
	;; [unrolled: 1-line block ×7, first 2 shown]
	v_add_lshl_u32 v5, v72, v5, 4
	v_add_nc_u32_e32 v31, 0xff, v0
	s_mov_b32 s6, 0x370991
	s_mov_b32 s12, 0x2b2883cd
	;; [unrolled: 1-line block ×3, first 2 shown]
	v_cndmask_b32_e32 v5, -1, v5, vcc_lo
	s_mov_b32 s26, 0x923c349f
	s_mov_b32 s28, 0x6c9a05f6
	;; [unrolled: 1-line block ×4, first 2 shown]
	buffer_load_dwordx4 v[17:20], v5, s[16:19], s2 offen
	v_mul_lo_u32 v5, s0, v6
	v_add_nc_u32_e32 v6, 0x44, v0
	s_mov_b32 s45, 0xbfd71e95
	s_mov_b32 s7, 0x3fedd6d0
	;; [unrolled: 1-line block ×6, first 2 shown]
	v_add_lshl_u32 v5, v72, v5, 4
	s_mov_b32 s27, 0xbfeec746
	s_mov_b32 s29, 0xbfe9895b
	;; [unrolled: 1-line block ×4, first 2 shown]
	v_cndmask_b32_e32 v5, -1, v5, vcc_lo
	s_mov_b32 s24, 0x75d4884
	s_mov_b32 s22, 0xc61f0d01
	;; [unrolled: 1-line block ×4, first 2 shown]
	buffer_load_dwordx4 v[21:24], v5, s[16:19], s2 offen
	v_mul_lo_u32 v5, s0, v6
	v_add_nc_u32_e32 v6, 0x55, v0
	s_mov_b32 s8, 0x7faef3
	s_mov_b32 s25, 0x3fe7a5f6
	;; [unrolled: 1-line block ×4, first 2 shown]
	v_mul_lo_u32 v9, s0, v6
	v_add_nc_u32_e32 v6, 0x77, v0
	v_add_lshl_u32 v5, v72, v5, 4
	s_mov_b32 s11, 0xbfeb34fa
	s_mov_b32 s9, 0xbfef7484
	;; [unrolled: 1-line block ×3, first 2 shown]
	v_mul_lo_u32 v6, s0, v6
	v_cndmask_b32_e32 v5, -1, v5, vcc_lo
	v_add_lshl_u32 v9, v72, v9, 4
	s_mov_b32 s39, 0x3feca52d
	s_mov_b32 s37, 0x3fefdd0d
	;; [unrolled: 1-line block ×3, first 2 shown]
	buffer_load_dwordx4 v[25:28], v5, s[16:19], s2 offen
	v_cndmask_b32_e32 v9, -1, v9, vcc_lo
	v_add_lshl_u32 v6, v72, v6, 4
	s_mov_b32 s38, s54
	s_mov_b32 s36, s46
	;; [unrolled: 1-line block ×3, first 2 shown]
	buffer_load_dwordx4 v[81:84], v9, s[16:19], s2 offen
	v_add_nc_u32_e32 v5, 0x66, v0
	v_mul_lo_u32 v9, s0, v10
	v_mul_lo_u32 v10, s0, v11
	;; [unrolled: 1-line block ×7, first 2 shown]
	v_cndmask_b32_e32 v6, -1, v6, vcc_lo
	v_add_lshl_u32 v9, v72, v9, 4
	v_add_lshl_u32 v10, v72, v10, 4
	;; [unrolled: 1-line block ×3, first 2 shown]
	s_mov_b32 s53, 0x3feec746
	v_add_lshl_u32 v5, v72, v5, 4
	v_cndmask_b32_e32 v9, -1, v9, vcc_lo
	s_mov_b32 s49, 0x3fe9895b
	s_mov_b32 s57, 0x3fe0d888
	;; [unrolled: 1-line block ×3, first 2 shown]
	v_cndmask_b32_e32 v5, -1, v5, vcc_lo
	s_clause 0x4
	buffer_load_dwordx4 v[66:69], v5, s[16:19], s2 offen
	buffer_load_dwordx4 v[87:90], v7, s[16:19], s2 offen
	;; [unrolled: 1-line block ×5, first 2 shown]
	v_add_lshl_u32 v5, v72, v30, 4
	v_cndmask_b32_e32 v7, -1, v10, vcc_lo
	v_mul_lo_u32 v10, s0, v31
	v_add_lshl_u32 v6, v72, v12, 4
	v_cndmask_b32_e32 v9, -1, v11, vcc_lo
	v_cndmask_b32_e32 v5, -1, v5, vcc_lo
	buffer_load_dwordx4 v[41:44], v7, s[16:19], s2 offen
	s_mov_b32 s40, s50
	v_cndmask_b32_e32 v11, -1, v6, vcc_lo
	s_clause 0x1
	buffer_load_dwordx4 v[5:8], v5, s[16:19], s2 offen
	buffer_load_dwordx4 v[37:40], v9, s[16:19], s2 offen
	v_add_lshl_u32 v9, v72, v29, 4
	v_add_lshl_u32 v10, v72, v10, 4
	buffer_load_dwordx4 v[33:36], v11, s[16:19], s2 offen
	s_mov_b32 s52, s26
	s_mov_b32 s48, s28
	v_cndmask_b32_e32 v9, -1, v9, vcc_lo
	v_cndmask_b32_e32 v10, -1, v10, vcc_lo
	s_clause 0x1
	buffer_load_dwordx4 v[29:32], v9, s[16:19], s2 offen
	buffer_load_dwordx4 v[9:12], v10, s[16:19], s2 offen
	s_mov_b32 s18, 0x3259b75e
	s_mov_b32 s19, 0x3fb79ee6
	;; [unrolled: 1-line block ×4, first 2 shown]
	s_waitcnt vmcnt(15)
	v_add_f64 v[45:46], v[1:2], v[13:14]
	v_add_f64 v[47:48], v[3:4], v[15:16]
	s_waitcnt vmcnt(14)
	v_add_f64 v[45:46], v[45:46], v[17:18]
	v_add_f64 v[47:48], v[47:48], v[19:20]
	;; [unrolled: 3-line block ×5, first 2 shown]
	v_add_f64 v[47:48], v[47:48], v[83:84]
	s_waitcnt vmcnt(6)
	v_add_f64 v[49:50], v[95:96], v[183:184]
	v_add_f64 v[61:62], v[97:98], v[185:186]
	v_add_f64 v[51:52], v[95:96], -v[183:184]
	v_add_f64 v[63:64], v[97:98], -v[185:186]
	;; [unrolled: 1-line block ×3, first 2 shown]
	s_waitcnt vmcnt(5)
	v_add_f64 v[57:58], v[66:67], v[41:42]
	v_add_f64 v[70:71], v[68:69], v[43:44]
	v_add_f64 v[59:60], v[66:67], -v[41:42]
	s_waitcnt vmcnt(4)
	v_add_f64 v[101:102], v[15:16], -v[7:8]
	v_add_f64 v[137:138], v[13:14], v[5:6]
	v_add_f64 v[135:136], v[13:14], -v[5:6]
	v_add_f64 v[75:76], v[68:69], -v[43:44]
	s_waitcnt vmcnt(3)
	v_add_f64 v[79:80], v[83:84], v[39:40]
	s_waitcnt vmcnt(2)
	v_add_f64 v[77:78], v[25:26], v[33:34]
	v_add_f64 v[25:26], v[25:26], -v[33:34]
	s_waitcnt vmcnt(0)
	v_add_f64 v[169:170], v[19:20], v[11:12]
	v_add_f64 v[85:86], v[45:46], v[66:67]
	;; [unrolled: 1-line block ×3, first 2 shown]
	v_add_f64 v[177:178], v[19:20], -v[11:12]
	v_add_f64 v[113:114], v[17:18], v[9:10]
	v_add_f64 v[115:116], v[17:18], -v[9:10]
	v_add_f64 v[66:67], v[81:82], v[37:38]
	v_add_f64 v[68:69], v[81:82], -v[37:38]
	v_add_f64 v[81:82], v[83:84], -v[39:40]
	v_add_f64 v[83:84], v[27:28], v[35:36]
	v_mul_f64 v[175:176], v[101:102], s[44:45]
	v_mul_f64 v[173:174], v[101:102], s[50:51]
	;; [unrolled: 1-line block ×8, first 2 shown]
	v_add_f64 v[27:28], v[27:28], -v[35:36]
	v_mul_f64 v[101:102], v[79:80], s[22:23]
	v_add_f64 v[47:48], v[87:88], v[91:92]
	v_add_f64 v[45:46], v[87:88], -v[91:92]
	v_mul_f64 v[181:182], v[169:170], s[24:25]
	v_add_f64 v[95:96], v[85:86], v[95:96]
	v_add_f64 v[97:98], v[99:100], v[97:98]
	;; [unrolled: 1-line block ×4, first 2 shown]
	v_add_f64 v[23:24], v[23:24], -v[31:32]
	v_mul_f64 v[179:180], v[177:178], s[50:51]
	v_mul_f64 v[193:194], v[177:178], s[28:29]
	v_mul_f64 v[195:196], v[169:170], s[14:15]
	v_mul_f64 v[197:198], v[169:170], s[8:9]
	v_fma_f64 v[211:212], v[137:138], s[6:7], v[175:176]
	v_fma_f64 v[175:176], v[137:138], s[6:7], -v[175:176]
	v_fma_f64 v[213:214], v[137:138], s[24:25], v[173:174]
	v_fma_f64 v[173:174], v[137:138], s[24:25], -v[173:174]
	;; [unrolled: 2-line block ×5, first 2 shown]
	v_fma_f64 v[221:222], v[137:138], s[8:9], v[157:158]
	v_add_f64 v[15:16], v[21:22], v[29:30]
	v_add_f64 v[21:22], v[21:22], -v[29:30]
	v_add_f64 v[19:20], v[95:96], v[87:88]
	v_add_f64 v[95:96], v[97:98], v[89:90]
	v_mul_f64 v[159:160], v[99:100], s[6:7]
	v_mul_f64 v[153:154], v[99:100], s[12:13]
	;; [unrolled: 1-line block ×15, first 2 shown]
	v_fma_f64 v[239:240], v[113:114], s[14:15], v[193:194]
	v_fma_f64 v[241:242], v[115:116], s[48:49], v[195:196]
	;; [unrolled: 1-line block ×4, first 2 shown]
	v_add_f64 v[211:212], v[1:2], v[211:212]
	v_add_f64 v[133:134], v[19:20], v[91:92]
	;; [unrolled: 1-line block ×4, first 2 shown]
	v_fma_f64 v[225:226], v[135:136], s[38:39], v[153:154]
	v_fma_f64 v[227:228], v[135:136], s[36:37], v[151:152]
	;; [unrolled: 1-line block ×11, first 2 shown]
	v_add_f64 v[215:216], v[1:2], v[215:216]
	v_add_f64 v[167:168], v[1:2], v[167:168]
	v_mul_f64 v[129:130], v[23:24], s[28:29]
	v_mul_f64 v[139:140], v[23:24], s[58:59]
	;; [unrolled: 1-line block ×3, first 2 shown]
	v_fma_f64 v[235:236], v[113:114], s[18:19], v[189:190]
	v_fma_f64 v[189:190], v[113:114], s[18:19], -v[189:190]
	v_fma_f64 v[193:194], v[113:114], s[14:15], -v[193:194]
	v_add_f64 v[183:184], v[133:134], v[183:184]
	v_add_f64 v[185:186], v[187:188], v[185:186]
	v_mul_f64 v[187:188], v[177:178], s[34:35]
	v_add_f64 v[225:226], v[3:4], v[225:226]
	v_fma_f64 v[195:196], v[115:116], s[28:29], v[195:196]
	v_add_f64 v[151:152], v[3:4], v[151:152]
	v_fma_f64 v[247:248], v[113:114], s[10:11], v[199:200]
	v_add_f64 v[223:224], v[3:4], v[223:224]
	v_add_f64 v[173:174], v[1:2], v[173:174]
	;; [unrolled: 1-line block ×14, first 2 shown]
	v_mul_f64 v[239:240], v[23:24], s[52:53]
	v_add_f64 v[41:42], v[183:184], v[41:42]
	v_add_f64 v[43:44], v[185:186], v[43:44]
	v_fma_f64 v[183:184], v[137:138], s[14:15], v[163:164]
	v_fma_f64 v[163:164], v[137:138], s[14:15], -v[163:164]
	v_fma_f64 v[185:186], v[137:138], s[10:11], v[161:162]
	v_fma_f64 v[161:162], v[137:138], s[10:11], -v[161:162]
	v_fma_f64 v[137:138], v[137:138], s[8:9], -v[157:158]
	v_fma_f64 v[157:158], v[135:136], s[42:43], v[159:160]
	v_fma_f64 v[159:160], v[135:136], s[44:45], v[159:160]
	;; [unrolled: 1-line block ×3, first 2 shown]
	v_fma_f64 v[187:188], v[113:114], s[8:9], -v[187:188]
	v_add_f64 v[225:226], v[241:242], v[225:226]
	v_mul_f64 v[241:242], v[85:86], s[22:23]
	v_add_f64 v[151:152], v[197:198], v[151:152]
	v_fma_f64 v[197:198], v[21:22], s[38:39], v[123:124]
	v_fma_f64 v[123:124], v[21:22], s[54:55], v[123:124]
	v_mul_f64 v[109:110], v[27:28], s[46:47]
	v_mul_f64 v[111:112], v[83:84], s[18:19]
	;; [unrolled: 1-line block ×3, first 2 shown]
	v_add_f64 v[213:214], v[1:2], v[213:214]
	v_add_f64 v[219:220], v[1:2], v[219:220]
	;; [unrolled: 1-line block ×5, first 2 shown]
	v_fma_f64 v[41:42], v[135:136], s[30:31], v[143:144]
	v_fma_f64 v[43:44], v[135:136], s[58:59], v[141:142]
	;; [unrolled: 1-line block ×5, first 2 shown]
	v_fma_f64 v[179:180], v[113:114], s[24:25], -v[179:180]
	v_fma_f64 v[181:182], v[115:116], s[50:51], v[181:182]
	v_add_f64 v[157:158], v[3:4], v[157:158]
	v_add_f64 v[159:160], v[3:4], v[159:160]
	v_add_f64 v[163:164], v[1:2], v[163:164]
	v_add_f64 v[167:168], v[187:188], v[167:168]
	v_fma_f64 v[187:188], v[15:16], s[12:13], v[121:122]
	v_fma_f64 v[121:122], v[15:16], s[12:13], -v[121:122]
	v_add_f64 v[183:184], v[1:2], v[183:184]
	v_add_f64 v[185:186], v[1:2], v[185:186]
	;; [unrolled: 1-line block ×4, first 2 shown]
	v_fma_f64 v[1:2], v[115:116], s[26:27], v[205:206]
	v_add_f64 v[173:174], v[189:190], v[173:174]
	v_add_f64 v[171:172], v[193:194], v[171:172]
	;; [unrolled: 1-line block ×4, first 2 shown]
	v_fma_f64 v[37:38], v[115:116], s[30:31], v[201:202]
	v_fma_f64 v[39:40], v[113:114], s[10:11], -v[199:200]
	v_fma_f64 v[199:200], v[115:116], s[56:57], v[201:202]
	v_fma_f64 v[201:202], v[113:114], s[22:23], v[203:204]
	v_add_f64 v[41:42], v[3:4], v[41:42]
	v_add_f64 v[43:44], v[3:4], v[43:44]
	;; [unrolled: 1-line block ×3, first 2 shown]
	v_fma_f64 v[3:4], v[113:114], s[22:23], -v[203:204]
	v_fma_f64 v[203:204], v[115:116], s[52:53], v[205:206]
	v_add_f64 v[141:142], v[141:142], v[211:212]
	v_add_f64 v[143:144], v[143:144], v[157:158]
	;; [unrolled: 1-line block ×7, first 2 shown]
	v_mul_f64 v[131:132], v[85:86], s[14:15]
	v_mul_f64 v[125:126], v[27:28], s[34:35]
	;; [unrolled: 1-line block ×7, first 2 shown]
	v_add_f64 v[39:40], v[39:40], v[165:166]
	v_fma_f64 v[165:166], v[15:16], s[14:15], v[129:130]
	v_add_f64 v[149:150], v[199:200], v[149:150]
	v_mul_f64 v[199:200], v[23:24], s[40:41]
	v_fma_f64 v[129:130], v[15:16], s[14:15], -v[129:130]
	v_fma_f64 v[237:238], v[115:116], s[36:37], v[191:192]
	v_add_f64 v[163:164], v[3:4], v[163:164]
	v_fma_f64 v[3:4], v[15:16], s[8:9], v[139:140]
	v_add_f64 v[147:148], v[203:204], v[147:148]
	v_mul_f64 v[203:204], v[23:24], s[44:45]
	v_add_f64 v[141:142], v[187:188], v[141:142]
	v_fma_f64 v[187:188], v[21:22], s[34:35], v[145:146]
	v_add_f64 v[143:144], v[197:198], v[143:144]
	v_mul_f64 v[197:198], v[85:86], s[6:7]
	v_fma_f64 v[139:140], v[15:16], s[8:9], -v[139:140]
	v_fma_f64 v[145:146], v[21:22], s[58:59], v[145:146]
	v_add_f64 v[121:122], v[121:122], v[175:176]
	v_fma_f64 v[175:176], v[15:16], s[22:23], v[239:240]
	v_add_f64 v[123:124], v[123:124], v[159:160]
	v_fma_f64 v[159:160], v[21:22], s[26:27], v[241:242]
	v_fma_f64 v[191:192], v[115:116], s[46:47], v[191:192]
	v_mul_f64 v[193:194], v[27:28], s[42:43]
	v_mul_f64 v[195:196], v[83:84], s[6:7]
	v_add_f64 v[219:220], v[247:248], v[219:220]
	v_add_f64 v[183:184], v[201:202], v[183:184]
	;; [unrolled: 1-line block ×3, first 2 shown]
	v_fma_f64 v[239:240], v[15:16], s[22:23], -v[239:240]
	v_add_f64 v[129:130], v[129:130], v[173:174]
	v_fma_f64 v[173:174], v[15:16], s[24:25], v[199:200]
	v_mul_f64 v[97:98], v[81:82], s[26:27]
	v_mul_f64 v[127:128], v[83:84], s[8:9]
	v_fma_f64 v[205:206], v[113:114], s[12:13], v[207:208]
	v_add_f64 v[29:30], v[33:34], v[29:30]
	v_add_f64 v[31:32], v[35:36], v[31:32]
	v_fma_f64 v[33:34], v[115:116], s[54:55], v[209:210]
	v_fma_f64 v[35:36], v[113:114], s[6:7], v[177:178]
	v_add_f64 v[139:140], v[139:140], v[171:172]
	v_fma_f64 v[171:172], v[15:16], s[6:7], v[203:204]
	v_add_f64 v[145:146], v[145:146], v[153:154]
	;; [unrolled: 2-line block ×4, first 2 shown]
	v_fma_f64 v[227:228], v[25:26], s[36:37], v[111:112]
	v_fma_f64 v[109:110], v[77:78], s[18:19], -v[109:110]
	v_fma_f64 v[111:112], v[25:26], s[46:47], v[111:112]
	v_fma_f64 v[177:178], v[113:114], s[6:7], -v[177:178]
	v_fma_f64 v[113:114], v[113:114], s[12:13], -v[207:208]
	v_fma_f64 v[207:208], v[115:116], s[44:45], v[169:170]
	v_fma_f64 v[169:170], v[115:116], s[42:43], v[169:170]
	;; [unrolled: 1-line block ×3, first 2 shown]
	v_mul_f64 v[209:210], v[83:84], s[22:23]
	v_add_f64 v[155:156], v[191:192], v[155:156]
	v_fma_f64 v[201:202], v[21:22], s[48:49], v[131:132]
	v_mul_f64 v[231:232], v[85:86], s[24:25]
	v_fma_f64 v[131:132], v[21:22], s[28:29], v[131:132]
	v_fma_f64 v[241:242], v[21:22], s[52:53], v[241:242]
	v_fma_f64 v[199:200], v[15:16], s[24:25], -v[199:200]
	v_add_f64 v[167:168], v[239:240], v[167:168]
	v_mul_f64 v[239:240], v[27:28], s[54:55]
	v_add_f64 v[173:174], v[173:174], v[219:220]
	v_fma_f64 v[219:220], v[77:78], s[8:9], v[125:126]
	v_fma_f64 v[125:126], v[77:78], s[8:9], -v[125:126]
	v_add_f64 v[171:172], v[171:172], v[183:184]
	v_fma_f64 v[183:184], v[77:78], s[22:23], v[133:134]
	v_add_f64 v[1:2], v[153:154], v[1:2]
	v_mul_f64 v[153:154], v[27:28], s[30:31]
	v_fma_f64 v[133:134], v[77:78], s[22:23], -v[133:134]
	v_add_f64 v[109:110], v[109:110], v[121:122]
	v_fma_f64 v[121:122], v[77:78], s[6:7], v[193:194]
	v_add_f64 v[111:112], v[111:112], v[123:124]
	v_fma_f64 v[123:124], v[25:26], s[44:45], v[195:196]
	v_mul_f64 v[117:118], v[81:82], s[56:57]
	v_mul_f64 v[211:212], v[81:82], s[40:41]
	v_add_f64 v[213:214], v[235:236], v[213:214]
	v_add_f64 v[223:224], v[237:238], v[223:224]
	v_mul_f64 v[243:244], v[81:82], s[54:55]
	v_mul_f64 v[245:246], v[79:80], s[12:13]
	v_add_f64 v[37:38], v[37:38], v[229:230]
	v_add_f64 v[131:132], v[131:132], v[155:156]
	v_fma_f64 v[155:156], v[21:22], s[50:51], v[231:232]
	v_add_f64 v[3:4], v[3:4], v[215:216]
	v_fma_f64 v[231:232], v[21:22], s[40:41], v[231:232]
	v_add_f64 v[151:152], v[241:242], v[151:152]
	v_mul_f64 v[241:242], v[83:84], s[12:13]
	v_add_f64 v[39:40], v[199:200], v[39:40]
	v_fma_f64 v[199:200], v[25:26], s[58:59], v[127:128]
	v_fma_f64 v[127:128], v[25:26], s[34:35], v[127:128]
	v_add_f64 v[141:142], v[217:218], v[141:142]
	v_fma_f64 v[217:218], v[25:26], s[26:27], v[209:210]
	v_add_f64 v[143:144], v[227:228], v[143:144]
	v_mul_f64 v[227:228], v[83:84], s[10:11]
	v_fma_f64 v[209:210], v[25:26], s[52:53], v[209:210]
	v_fma_f64 v[193:194], v[77:78], s[6:7], -v[193:194]
	v_fma_f64 v[195:196], v[25:26], s[42:43], v[195:196]
	v_add_f64 v[125:126], v[125:126], v[129:130]
	v_fma_f64 v[129:130], v[77:78], s[12:13], v[239:240]
	v_add_f64 v[133:134], v[133:134], v[139:140]
	v_fma_f64 v[139:140], v[77:78], s[10:11], v[153:154]
	v_add_f64 v[121:122], v[121:122], v[175:176]
	v_fma_f64 v[175:176], v[66:67], s[22:23], v[97:98]
	v_add_f64 v[123:124], v[123:124], v[159:160]
	v_fma_f64 v[159:160], v[68:69], s[52:53], v[101:102]
	v_fma_f64 v[97:98], v[66:67], s[22:23], -v[97:98]
	v_fma_f64 v[101:102], v[68:69], s[26:27], v[101:102]
	v_mul_f64 v[87:88], v[75:76], s[28:29]
	v_mul_f64 v[89:90], v[70:71], s[14:15]
	;; [unrolled: 1-line block ×4, first 2 shown]
	v_add_f64 v[165:166], v[165:166], v[213:214]
	v_add_f64 v[201:202], v[201:202], v[223:224]
	;; [unrolled: 1-line block ×4, first 2 shown]
	v_mul_f64 v[155:156], v[81:82], s[34:35]
	v_add_f64 v[149:150], v[231:232], v[149:150]
	v_mul_f64 v[231:232], v[79:80], s[8:9]
	v_add_f64 v[127:128], v[127:128], v[131:132]
	v_fma_f64 v[131:132], v[25:26], s[38:39], v[241:242]
	v_add_f64 v[3:4], v[183:184], v[3:4]
	v_fma_f64 v[239:240], v[77:78], s[12:13], -v[239:240]
	v_fma_f64 v[241:242], v[25:26], s[54:55], v[241:242]
	v_add_f64 v[145:146], v[209:210], v[145:146]
	v_fma_f64 v[209:210], v[25:26], s[56:57], v[227:228]
	v_add_f64 v[167:168], v[193:194], v[167:168]
	v_add_f64 v[151:152], v[195:196], v[151:152]
	;; [unrolled: 1-line block ×3, first 2 shown]
	v_fma_f64 v[173:174], v[66:67], s[10:11], v[117:118]
	v_fma_f64 v[117:118], v[66:67], s[10:11], -v[117:118]
	v_add_f64 v[139:140], v[139:140], v[171:172]
	v_fma_f64 v[171:172], v[66:67], s[24:25], v[211:212]
	v_add_f64 v[97:98], v[97:98], v[109:110]
	v_fma_f64 v[109:110], v[66:67], s[12:13], v[243:244]
	;; [unrolled: 2-line block ×3, first 2 shown]
	v_fma_f64 v[243:244], v[66:67], s[12:13], -v[243:244]
	v_fma_f64 v[245:246], v[68:69], s[54:55], v[245:246]
	v_mul_f64 v[105:106], v[75:76], s[52:53]
	v_mul_f64 v[107:108], v[70:71], s[22:23]
	;; [unrolled: 1-line block ×4, first 2 shown]
	v_add_f64 v[165:166], v[219:220], v[165:166]
	v_add_f64 v[199:200], v[199:200], v[201:202]
	;; [unrolled: 1-line block ×4, first 2 shown]
	v_fma_f64 v[131:132], v[68:69], s[30:31], v[119:120]
	v_add_f64 v[39:40], v[239:240], v[39:40]
	v_add_f64 v[149:150], v[241:242], v[149:150]
	v_add_f64 v[1:2], v[209:210], v[1:2]
	v_fma_f64 v[209:210], v[68:69], s[50:51], v[157:158]
	v_add_f64 v[141:142], v[175:176], v[141:142]
	v_add_f64 v[143:144], v[159:160], v[143:144]
	;; [unrolled: 1-line block ×3, first 2 shown]
	v_fma_f64 v[125:126], v[66:67], s[8:9], v[155:156]
	v_add_f64 v[3:4], v[171:172], v[3:4]
	v_fma_f64 v[171:172], v[68:69], s[58:59], v[231:232]
	v_fma_f64 v[155:156], v[66:67], s[8:9], -v[155:156]
	v_fma_f64 v[231:232], v[68:69], s[34:35], v[231:232]
	v_add_f64 v[167:168], v[243:244], v[167:168]
	v_fma_f64 v[243:244], v[57:58], s[14:15], v[87:88]
	v_add_f64 v[151:152], v[245:246], v[151:152]
	v_fma_f64 v[245:246], v[59:60], s[48:49], v[89:90]
	v_fma_f64 v[211:212], v[66:67], s[24:25], -v[211:212]
	v_mul_f64 v[13:14], v[63:64], s[30:31]
	v_mul_f64 v[93:94], v[63:64], s[38:39]
	;; [unrolled: 1-line block ×7, first 2 shown]
	v_fma_f64 v[119:120], v[68:69], s[56:57], v[119:120]
	v_fma_f64 v[157:158], v[68:69], s[40:41], v[157:158]
	v_add_f64 v[165:166], v[173:174], v[165:166]
	v_add_f64 v[131:132], v[131:132], v[199:200]
	;; [unrolled: 1-line block ×3, first 2 shown]
	v_fma_f64 v[87:88], v[57:58], s[14:15], -v[87:88]
	v_mul_f64 v[95:96], v[61:62], s[12:13]
	v_fma_f64 v[89:90], v[59:60], s[28:29], v[89:90]
	v_add_f64 v[39:40], v[155:156], v[39:40]
	v_fma_f64 v[155:156], v[57:58], s[22:23], v[105:106]
	v_add_f64 v[149:150], v[231:232], v[149:150]
	v_fma_f64 v[231:232], v[59:60], s[26:27], v[107:108]
	v_fma_f64 v[105:106], v[57:58], s[22:23], -v[105:106]
	v_add_f64 v[141:142], v[243:244], v[141:142]
	v_fma_f64 v[243:244], v[57:58], s[6:7], v[179:180]
	v_add_f64 v[143:144], v[245:246], v[143:144]
	v_fma_f64 v[245:246], v[59:60], s[42:43], v[181:182]
	v_mul_f64 v[235:236], v[63:64], s[46:47]
	v_add_f64 v[133:134], v[211:212], v[133:134]
	v_fma_f64 v[179:180], v[57:58], s[6:7], -v[179:180]
	v_mul_f64 v[17:18], v[61:62], s[10:11]
	v_mul_f64 v[19:20], v[55:56], s[34:35]
	;; [unrolled: 1-line block ×9, first 2 shown]
	v_add_f64 v[119:120], v[119:120], v[127:128]
	v_fma_f64 v[211:212], v[66:67], s[18:19], v[239:240]
	v_add_f64 v[145:146], v[157:158], v[145:146]
	v_add_f64 v[109:110], v[109:110], v[121:122]
	;; [unrolled: 1-line block ×3, first 2 shown]
	v_fma_f64 v[129:130], v[49:50], s[10:11], v[13:14]
	v_add_f64 v[37:38], v[171:172], v[37:38]
	v_fma_f64 v[107:108], v[59:60], s[52:53], v[107:108]
	v_fma_f64 v[13:14], v[49:50], s[10:11], -v[13:14]
	v_add_f64 v[87:88], v[87:88], v[97:98]
	v_fma_f64 v[97:98], v[49:50], s[12:13], v[93:94]
	v_fma_f64 v[181:182], v[59:60], s[44:45], v[181:182]
	v_add_f64 v[155:156], v[155:156], v[165:166]
	v_fma_f64 v[165:166], v[57:58], s[10:11], v[247:248]
	v_add_f64 v[131:132], v[231:232], v[131:132]
	;; [unrolled: 2-line block ×3, first 2 shown]
	v_fma_f64 v[247:248], v[57:58], s[10:11], -v[247:248]
	v_fma_f64 v[93:94], v[49:50], s[12:13], -v[93:94]
	v_fma_f64 v[229:230], v[59:60], s[30:31], v[229:230]
	v_add_f64 v[3:4], v[243:244], v[3:4]
	v_fma_f64 v[243:244], v[57:58], s[18:19], v[219:220]
	v_add_f64 v[187:188], v[245:246], v[187:188]
	v_fma_f64 v[245:246], v[59:60], s[46:47], v[201:202]
	v_fma_f64 v[219:220], v[57:58], s[18:19], -v[219:220]
	v_fma_f64 v[201:202], v[59:60], s[36:37], v[201:202]
	v_mul_f64 v[99:100], v[53:54], s[6:7]
	v_add_f64 v[89:90], v[89:90], v[101:102]
	v_fma_f64 v[101:102], v[51:52], s[54:55], v[95:96]
	v_mul_f64 v[189:190], v[55:56], s[30:31]
	v_add_f64 v[111:112], v[111:112], v[123:124]
	v_add_f64 v[133:134], v[179:180], v[133:134]
	v_fma_f64 v[179:180], v[49:50], s[18:19], v[235:236]
	v_mul_f64 v[91:92], v[53:54], s[8:9]
	v_mul_f64 v[159:160], v[70:71], s[24:25]
	;; [unrolled: 1-line block ×3, first 2 shown]
	v_fma_f64 v[121:122], v[68:69], s[46:47], v[241:242]
	v_mul_f64 v[123:124], v[85:86], s[18:19]
	v_fma_f64 v[171:172], v[51:52], s[56:57], v[17:18]
	v_add_f64 v[139:140], v[211:212], v[139:140]
	v_fma_f64 v[211:212], v[47:48], s[8:9], v[19:20]
	v_fma_f64 v[17:18], v[51:52], s[30:31], v[17:18]
	v_fma_f64 v[19:20], v[47:48], s[8:9], -v[19:20]
	v_fma_f64 v[117:118], v[47:48], s[6:7], v[103:104]
	v_add_f64 v[107:108], v[107:108], v[119:120]
	v_fma_f64 v[95:96], v[51:52], s[38:39], v[95:96]
	v_fma_f64 v[103:104], v[47:48], s[6:7], -v[103:104]
	v_add_f64 v[145:146], v[181:182], v[145:146]
	v_fma_f64 v[181:182], v[51:52], s[36:37], v[237:238]
	v_add_f64 v[109:110], v[165:166], v[109:110]
	v_fma_f64 v[165:166], v[57:58], s[24:25], v[175:176]
	v_add_f64 v[167:168], v[247:248], v[167:168]
	v_fma_f64 v[235:236], v[49:50], s[18:19], -v[235:236]
	v_fma_f64 v[237:238], v[51:52], s[46:47], v[237:238]
	v_add_f64 v[151:152], v[229:230], v[151:152]
	v_fma_f64 v[229:230], v[49:50], s[14:15], v[213:214]
	v_add_f64 v[37:38], v[245:246], v[37:38]
	v_add_f64 v[39:40], v[219:220], v[39:40]
	v_fma_f64 v[213:214], v[49:50], s[14:15], -v[213:214]
	v_add_f64 v[149:150], v[201:202], v[149:150]
	v_fma_f64 v[201:202], v[49:50], s[6:7], v[183:184]
	v_add_f64 v[129:130], v[129:130], v[141:142]
	v_fma_f64 v[141:142], v[51:52], s[42:43], v[217:218]
	v_add_f64 v[13:14], v[13:14], v[87:88]
	v_fma_f64 v[183:184], v[49:50], s[6:7], -v[183:184]
	v_add_f64 v[97:98], v[97:98], v[155:156]
	v_add_f64 v[93:94], v[93:94], v[105:106]
	;; [unrolled: 1-line block ×3, first 2 shown]
	v_mul_f64 v[23:24], v[23:24], s[30:31]
	v_mul_f64 v[85:86], v[85:86], s[10:11]
	v_fma_f64 v[119:120], v[45:46], s[44:45], v[99:100]
	v_add_f64 v[101:102], v[101:102], v[131:132]
	v_add_f64 v[111:112], v[231:232], v[111:112]
	v_fma_f64 v[231:232], v[47:48], s[10:11], v[189:190]
	v_add_f64 v[105:106], v[179:180], v[3:4]
	v_add_f64 v[1:2], v[121:122], v[1:2]
	v_fma_f64 v[121:122], v[45:46], s[58:59], v[91:92]
	v_add_f64 v[139:140], v[165:166], v[139:140]
	v_fma_f64 v[165:166], v[59:60], s[40:41], v[159:160]
	v_add_f64 v[143:144], v[171:172], v[143:144]
	v_fma_f64 v[203:204], v[15:16], s[6:7], -v[203:204]
	v_fma_f64 v[197:198], v[21:22], s[44:45], v[197:198]
	v_add_f64 v[179:180], v[181:182], v[187:188]
	v_add_f64 v[181:182], v[29:30], v[9:10]
	;; [unrolled: 1-line block ×15, first 2 shown]
	v_fma_f64 v[37:38], v[15:16], s[18:19], v[157:158]
	v_fma_f64 v[39:40], v[21:22], s[36:37], v[123:124]
	v_mul_f64 v[93:94], v[27:28], s[48:49]
	v_mul_f64 v[97:98], v[83:84], s[14:15]
	v_add_f64 v[19:20], v[119:120], v[101:102]
	v_add_f64 v[35:36], v[35:36], v[221:222]
	;; [unrolled: 1-line block ×3, first 2 shown]
	v_fma_f64 v[101:102], v[15:16], s[10:11], v[23:24]
	v_fma_f64 v[103:104], v[21:22], s[56:57], v[85:86]
	v_mul_f64 v[27:28], v[27:28], s[40:41]
	v_mul_f64 v[83:84], v[83:84], s[24:25]
	v_add_f64 v[29:30], v[231:232], v[105:106]
	v_add_f64 v[105:106], v[177:178], v[137:138]
	;; [unrolled: 1-line block ×3, first 2 shown]
	v_fma_f64 v[23:24], v[15:16], s[10:11], -v[23:24]
	v_fma_f64 v[85:86], v[21:22], s[30:31], v[85:86]
	v_add_f64 v[113:114], v[113:114], v[161:162]
	v_add_f64 v[41:42], v[115:116], v[41:42]
	v_fma_f64 v[15:16], v[15:16], s[18:19], -v[157:158]
	v_fma_f64 v[21:22], v[21:22], s[46:47], v[123:124]
	v_add_f64 v[165:166], v[165:166], v[1:2]
	v_add_f64 v[1:2], v[211:212], v[129:130]
	;; [unrolled: 1-line block ×5, first 2 shown]
	v_fma_f64 v[121:122], v[77:78], s[10:11], -v[153:154]
	v_fma_f64 v[123:124], v[25:26], s[30:31], v[227:228]
	v_add_f64 v[11:12], v[37:38], v[11:12]
	v_add_f64 v[33:34], v[39:40], v[33:34]
	v_fma_f64 v[37:38], v[77:78], s[14:15], v[93:94]
	v_fma_f64 v[39:40], v[25:26], s[28:29], v[97:98]
	v_mul_f64 v[129:130], v[81:82], s[44:45]
	v_mul_f64 v[135:136], v[79:80], s[6:7]
	v_add_f64 v[35:36], v[101:102], v[35:36]
	v_add_f64 v[43:44], v[103:104], v[43:44]
	v_fma_f64 v[101:102], v[77:78], s[24:25], v[27:28]
	v_fma_f64 v[103:104], v[25:26], s[50:51], v[83:84]
	v_mul_f64 v[81:82], v[81:82], s[28:29]
	v_mul_f64 v[79:80], v[79:80], s[14:15]
	v_add_f64 v[23:24], v[23:24], v[105:106]
	v_add_f64 v[85:86], v[85:86], v[117:118]
	v_fma_f64 v[27:28], v[77:78], s[24:25], -v[27:28]
	v_fma_f64 v[83:84], v[25:26], s[40:41], v[83:84]
	v_add_f64 v[15:16], v[15:16], v[113:114]
	v_add_f64 v[21:22], v[21:22], v[41:42]
	v_fma_f64 v[41:42], v[77:78], s[14:15], -v[93:94]
	v_fma_f64 v[25:26], v[25:26], s[48:49], v[97:98]
	v_add_f64 v[77:78], v[121:122], v[115:116]
	v_add_f64 v[93:94], v[123:124], v[119:120]
	v_fma_f64 v[97:98], v[66:67], s[18:19], -v[239:240]
	v_fma_f64 v[105:106], v[68:69], s[36:37], v[241:242]
	v_add_f64 v[11:12], v[37:38], v[11:12]
	v_add_f64 v[33:34], v[39:40], v[33:34]
	v_fma_f64 v[37:38], v[66:67], s[6:7], v[129:130]
	v_fma_f64 v[39:40], v[68:69], s[42:43], v[135:136]
	v_mul_f64 v[113:114], v[75:76], s[34:35]
	v_mul_f64 v[115:116], v[70:71], s[8:9]
	v_add_f64 v[35:36], v[101:102], v[35:36]
	v_add_f64 v[43:44], v[103:104], v[43:44]
	v_fma_f64 v[101:102], v[66:67], s[14:15], v[81:82]
	v_fma_f64 v[103:104], v[68:69], s[48:49], v[79:80]
	v_mul_f64 v[75:76], v[75:76], s[38:39]
	v_mul_f64 v[70:71], v[70:71], s[12:13]
	v_add_f64 v[23:24], v[27:28], v[23:24]
	v_add_f64 v[27:28], v[83:84], v[85:86]
	v_fma_f64 v[81:82], v[66:67], s[14:15], -v[81:82]
	v_fma_f64 v[79:80], v[68:69], s[28:29], v[79:80]
	v_add_f64 v[15:16], v[41:42], v[15:16]
	v_add_f64 v[21:22], v[25:26], v[21:22]
	v_fma_f64 v[25:26], v[66:67], s[6:7], -v[129:130]
	v_fma_f64 v[41:42], v[68:69], s[44:45], v[135:136]
	v_mul_f64 v[223:224], v[61:62], s[14:15]
	v_mul_f64 v[173:174], v[63:64], s[34:35]
	;; [unrolled: 1-line block ×3, first 2 shown]
	v_add_f64 v[66:67], v[97:98], v[77:78]
	v_add_f64 v[68:69], v[105:106], v[93:94]
	v_fma_f64 v[77:78], v[57:58], s[24:25], -v[175:176]
	v_add_f64 v[11:12], v[37:38], v[11:12]
	v_add_f64 v[33:34], v[39:40], v[33:34]
	v_fma_f64 v[37:38], v[57:58], s[8:9], v[113:114]
	v_fma_f64 v[39:40], v[59:60], s[58:59], v[115:116]
	v_mul_f64 v[85:86], v[63:64], s[40:41]
	v_mul_f64 v[93:94], v[61:62], s[24:25]
	v_fma_f64 v[83:84], v[59:60], s[50:51], v[159:160]
	v_add_f64 v[35:36], v[101:102], v[35:36]
	v_add_f64 v[43:44], v[103:104], v[43:44]
	v_fma_f64 v[97:98], v[57:58], s[12:13], v[75:76]
	v_fma_f64 v[101:102], v[59:60], s[54:55], v[70:71]
	v_mul_f64 v[63:64], v[63:64], s[26:27]
	v_mul_f64 v[61:62], v[61:62], s[22:23]
	v_add_f64 v[23:24], v[81:82], v[23:24]
	v_add_f64 v[27:28], v[79:80], v[27:28]
	v_fma_f64 v[75:76], v[57:58], s[12:13], -v[75:76]
	v_fma_f64 v[70:71], v[59:60], s[38:39], v[70:71]
	v_add_f64 v[15:16], v[25:26], v[15:16]
	v_add_f64 v[21:22], v[41:42], v[21:22]
	v_fma_f64 v[25:26], v[57:58], s[8:9], -v[113:114]
	v_fma_f64 v[41:42], v[59:60], s[34:35], v[115:116]
	v_mul_f64 v[191:192], v[53:54], s[10:11]
	v_mul_f64 v[215:216], v[55:56], s[40:41]
	;; [unrolled: 1-line block ×3, first 2 shown]
	v_add_f64 v[125:126], v[243:244], v[125:126]
	v_fma_f64 v[243:244], v[51:52], s[28:29], v[223:224]
	v_mul_f64 v[193:194], v[55:56], s[28:29]
	v_mul_f64 v[195:196], v[53:54], s[14:15]
	v_mul_f64 v[127:128], v[55:56], s[38:39]
	v_mul_f64 v[209:210], v[53:54], s[12:13]
	v_fma_f64 v[155:156], v[49:50], s[8:9], v[173:174]
	v_fma_f64 v[131:132], v[51:52], s[58:59], v[199:200]
	v_add_f64 v[57:58], v[77:78], v[66:67]
	v_add_f64 v[11:12], v[37:38], v[11:12]
	;; [unrolled: 1-line block ×3, first 2 shown]
	v_fma_f64 v[37:38], v[49:50], s[24:25], v[85:86]
	v_fma_f64 v[39:40], v[51:52], s[50:51], v[93:94]
	v_mul_f64 v[77:78], v[55:56], s[26:27]
	v_mul_f64 v[79:80], v[53:54], s[22:23]
	v_add_f64 v[59:60], v[83:84], v[68:69]
	v_fma_f64 v[66:67], v[49:50], s[8:9], -v[173:174]
	v_fma_f64 v[68:69], v[51:52], s[34:35], v[199:200]
	v_add_f64 v[35:36], v[97:98], v[35:36]
	v_add_f64 v[43:44], v[101:102], v[43:44]
	v_fma_f64 v[81:82], v[49:50], s[22:23], v[63:64]
	v_fma_f64 v[83:84], v[51:52], s[52:53], v[61:62]
	v_mul_f64 v[55:56], v[55:56], s[36:37]
	v_mul_f64 v[53:54], v[53:54], s[18:19]
	v_add_f64 v[23:24], v[75:76], v[23:24]
	v_add_f64 v[27:28], v[70:71], v[27:28]
	v_fma_f64 v[63:64], v[49:50], s[22:23], -v[63:64]
	v_fma_f64 v[61:62], v[51:52], s[26:27], v[61:62]
	v_add_f64 v[15:16], v[25:26], v[15:16]
	v_add_f64 v[21:22], v[41:42], v[21:22]
	v_fma_f64 v[25:26], v[49:50], s[24:25], -v[85:86]
	v_fma_f64 v[41:42], v[51:52], s[40:41], v[93:94]
	v_fma_f64 v[217:218], v[51:52], s[44:45], v[217:218]
	v_fma_f64 v[189:190], v[47:48], s[10:11], -v[189:190]
	v_fma_f64 v[223:224], v[51:52], s[48:49], v[223:224]
	v_fma_f64 v[247:248], v[45:46], s[56:57], v[191:192]
	;; [unrolled: 1-line block ×4, first 2 shown]
	v_add_f64 v[109:110], v[229:230], v[109:110]
	v_add_f64 v[111:112], v[243:244], v[111:112]
	v_fma_f64 v[171:172], v[47:48], s[14:15], v[193:194]
	v_fma_f64 v[87:88], v[45:46], s[48:49], v[195:196]
	v_add_f64 v[125:126], v[201:202], v[125:126]
	v_add_f64 v[49:50], v[155:156], v[139:140]
	;; [unrolled: 1-line block ×3, first 2 shown]
	v_fma_f64 v[70:71], v[47:48], s[12:13], v[127:128]
	v_fma_f64 v[75:76], v[45:46], s[54:55], v[209:210]
	v_add_f64 v[11:12], v[37:38], v[11:12]
	v_add_f64 v[85:86], v[39:40], v[33:34]
	v_fma_f64 v[93:94], v[47:48], s[22:23], v[77:78]
	v_fma_f64 v[97:98], v[45:46], s[52:53], v[79:80]
	v_add_f64 v[57:58], v[66:67], v[57:58]
	v_add_f64 v[59:60], v[68:69], v[59:60]
	v_fma_f64 v[66:67], v[47:48], s[12:13], -v[127:128]
	v_fma_f64 v[68:69], v[45:46], s[38:39], v[209:210]
	v_add_f64 v[35:36], v[81:82], v[35:36]
	v_add_f64 v[81:82], v[83:84], v[43:44]
	v_fma_f64 v[83:84], v[47:48], s[18:19], v[55:56]
	v_fma_f64 v[101:102], v[45:46], s[46:47], v[53:54]
	v_add_f64 v[23:24], v[63:64], v[23:24]
	v_add_f64 v[63:64], v[61:62], v[27:28]
	v_fma_f64 v[61:62], v[47:48], s[18:19], -v[55:56]
	v_fma_f64 v[103:104], v[45:46], s[36:37], v[53:54]
	v_add_f64 v[15:16], v[25:26], v[15:16]
	v_add_f64 v[105:106], v[41:42], v[21:22]
	v_fma_f64 v[77:78], v[47:48], s[22:23], -v[77:78]
	v_fma_f64 v[79:80], v[45:46], s[26:27], v[79:80]
	v_fma_f64 v[193:194], v[47:48], s[14:15], -v[193:194]
	v_fma_f64 v[195:196], v[45:46], s[28:29], v[195:196]
	v_add_f64 v[149:150], v[217:218], v[149:150]
	v_fma_f64 v[215:216], v[47:48], s[24:25], -v[215:216]
	v_add_f64 v[21:22], v[189:190], v[107:108]
	v_add_f64 v[107:108], v[223:224], v[151:152]
	v_fma_f64 v[113:114], v[45:46], s[40:41], v[225:226]
	v_fma_f64 v[191:192], v[45:46], s[30:31], v[191:192]
	;; [unrolled: 1-line block ×4, first 2 shown]
	v_add_f64 v[5:6], v[181:182], v[5:6]
	v_add_f64 v[31:32], v[247:248], v[179:180]
	;; [unrolled: 1-line block ×20, first 2 shown]
	v_mul_u32_u24_e32 v66, 0x770, v0
	v_lshlrev_b32_e32 v69, 4, v74
	v_add_f64 v[33:34], v[215:216], v[145:146]
	v_add_f64 v[35:36], v[113:114], v[107:108]
	;; [unrolled: 1-line block ×5, first 2 shown]
	v_add3_u32 v66, 0, v66, v69
	ds_write_b128 v66, v[5:8]
	ds_write_b128 v66, v[1:4] offset:112
	ds_write_b128 v66, v[17:20] offset:224
	;; [unrolled: 1-line block ×16, first 2 shown]
	s_waitcnt lgkmcnt(0)
	s_barrier
	buffer_gl0_inv
	s_and_saveexec_b32 s2, vcc_lo
	s_cbranch_execz .LBB0_17
; %bb.16:
	v_mul_hi_u32 v1, 0xf0f0f10, v0
	v_mul_lo_u32 v61, 0xffffffef, v65
	s_add_i32 s2, 0, 0x7e70
	v_mul_u32_u24_e32 v1, 17, v1
	v_sub_nc_u32_e32 v68, v0, v1
	v_mul_u32_u24_e32 v0, 0x70, v0
	v_add_nc_u32_e32 v1, 0x110, v68
	v_add3_u32 v0, 0, v0, v69
	v_mul_lo_u32 v2, v1, v65
	v_add_nc_u32_e32 v1, v2, v61
	v_lshrrev_b32_e32 v3, 2, v2
	v_and_b32_e32 v4, 63, v2
	v_lshrrev_b32_e32 v2, 8, v2
	v_lshrrev_b32_e32 v5, 2, v1
	v_and_b32_e32 v3, 0x3f0, v3
	v_and_b32_e32 v6, 63, v1
	v_add_nc_u32_e32 v7, v1, v61
	v_and_b32_e32 v2, 0x3f0, v2
	v_and_b32_e32 v5, 0x3f0, v5
	v_lshl_add_u32 v4, v4, 4, 0
	v_lshrrev_b32_e32 v1, 8, v1
	v_add_nc_u32_e32 v8, s2, v3
	v_lshl_add_u32 v6, v6, 4, 0
	v_lshrrev_b32_e32 v3, 2, v7
	v_add_nc_u32_e32 v9, v7, v61
	v_add_nc_u32_e32 v2, s2, v2
	;; [unrolled: 1-line block ×3, first 2 shown]
	v_and_b32_e32 v10, 63, v7
	v_lshrrev_b32_e32 v7, 8, v7
	v_and_b32_e32 v11, 0x3f0, v1
	v_and_b32_e32 v13, 0x3f0, v3
	ds_read_b128 v[29:32], v4 offset:32368
	ds_read_b128 v[1:4], v2 offset:2048
	;; [unrolled: 1-line block ×4, first 2 shown]
	v_lshrrev_b32_e32 v12, 2, v9
	v_and_b32_e32 v16, 0x3f0, v7
	v_and_b32_e32 v14, 63, v9
	v_add_nc_u32_e32 v11, s2, v11
	v_add_nc_u32_e32 v13, s2, v13
	v_and_b32_e32 v12, 0x3f0, v12
	v_add_nc_u32_e32 v15, v9, v61
	v_lshl_add_u32 v10, v10, 4, 0
	v_lshrrev_b32_e32 v9, 8, v9
	ds_read_b128 v[75:78], v8 offset:1024
	ds_read_b128 v[5:8], v11 offset:2048
	v_add_nc_u32_e32 v11, s2, v16
	v_lshl_add_u32 v14, v14, 4, 0
	ds_read_b128 v[81:84], v13 offset:1024
	v_add_nc_u32_e32 v20, s2, v12
	v_lshrrev_b32_e32 v17, 2, v15
	v_add_nc_u32_e32 v18, v15, v61
	v_and_b32_e32 v16, 0x3f0, v9
	ds_read_b128 v[93:96], v10 offset:32368
	ds_read_b128 v[9:12], v11 offset:2048
	;; [unrolled: 1-line block ×4, first 2 shown]
	v_and_b32_e32 v19, 63, v15
	v_and_b32_e32 v17, 0x3f0, v17
	v_lshrrev_b32_e32 v13, 2, v18
	s_waitcnt lgkmcnt(7)
	v_mul_f64 v[66:67], v[39:40], v[55:56]
	v_mul_f64 v[55:56], v[37:38], v[55:56]
	v_and_b32_e32 v21, 63, v18
	v_lshl_add_u32 v19, v19, 4, 0
	v_add_nc_u32_e32 v22, v18, v61
	v_lshrrev_b32_e32 v15, 8, v15
	v_add_nc_u32_e32 v14, s2, v16
	v_and_b32_e32 v23, 0x3f0, v13
	v_add_nc_u32_e32 v17, s2, v17
	v_lshrrev_b32_e32 v18, 8, v18
	v_lshl_add_u32 v21, v21, 4, 0
	ds_read_b128 v[25:28], v19 offset:32368
	v_lshrrev_b32_e32 v19, 2, v22
	v_and_b32_e32 v20, 0x3f0, v15
	ds_read_b128 v[13:16], v14 offset:2048
	ds_read_b128 v[33:36], v17 offset:1024
	v_add_nc_u32_e32 v17, s2, v23
	s_waitcnt lgkmcnt(9)
	v_mul_f64 v[59:60], v[31:32], v[77:78]
	v_mul_f64 v[62:63], v[29:30], v[77:78]
	s_waitcnt lgkmcnt(6)
	v_mul_f64 v[70:71], v[95:96], v[83:84]
	v_mul_f64 v[77:78], v[93:94], v[83:84]
	v_and_b32_e32 v24, 63, v22
	v_and_b32_e32 v18, 0x3f0, v18
	ds_read_b128 v[41:44], v21 offset:32368
	ds_read_b128 v[45:48], v17 offset:1024
	v_and_b32_e32 v17, 0x3f0, v19
	v_add_nc_u32_e32 v64, v22, v61
	v_add_nc_u32_e32 v20, s2, v20
	v_lshl_add_u32 v19, v24, 4, 0
	v_add_nc_u32_e32 v18, s2, v18
	v_add_nc_u32_e32 v23, s2, v17
	v_lshrrev_b32_e32 v21, 2, v64
	ds_read_b128 v[189:192], v20 offset:2048
	ds_read_b128 v[49:52], v19 offset:32368
	;; [unrolled: 1-line block ×3, first 2 shown]
	buffer_store_dword v72, off, s[60:63], 0 offset:4 ; 4-byte Folded Spill
	buffer_store_dword v73, off, s[60:63], 0 offset:8 ; 4-byte Folded Spill
	buffer_store_dword v74, off, s[60:63], 0 ; 4-byte Folded Spill
	v_fma_f64 v[87:88], v[37:38], v[53:54], -v[66:67]
	v_fma_f64 v[85:86], v[39:40], v[53:54], v[55:56]
	ds_read_b128 v[53:56], v23 offset:1024
	v_and_b32_e32 v23, 63, v64
	v_and_b32_e32 v21, 0x3f0, v21
	s_waitcnt lgkmcnt(9)
	v_mul_f64 v[83:84], v[99:100], v[103:104]
	v_mul_f64 v[103:104], v[97:98], v[103:104]
	s_waitcnt lgkmcnt(6)
	v_mul_f64 v[57:58], v[27:28], v[35:36]
	v_lshl_add_u32 v23, v23, 4, 0
	v_add_nc_u32_e32 v21, s2, v21
	v_fma_f64 v[79:80], v[93:94], v[81:82], -v[70:71]
	v_fma_f64 v[81:82], v[95:96], v[81:82], v[77:78]
	v_lshrrev_b32_e32 v22, 8, v22
	v_lshrrev_b32_e32 v24, 8, v64
	ds_read_b128 v[93:96], v23 offset:32368
	ds_read_b128 v[105:108], v21 offset:1024
	v_fma_f64 v[91:92], v[29:30], v[75:76], -v[59:60]
	v_add_nc_u32_e32 v29, v64, v61
	v_and_b32_e32 v22, 0x3f0, v22
	v_and_b32_e32 v24, 0x3f0, v24
	v_fma_f64 v[89:90], v[31:32], v[75:76], v[62:63]
	v_mul_f64 v[35:36], v[25:26], v[35:36]
	v_lshrrev_b32_e32 v21, 2, v29
	v_add_nc_u32_e32 v22, s2, v22
	v_add_nc_u32_e32 v23, s2, v24
	v_and_b32_e32 v24, 63, v29
	s_waitcnt lgkmcnt(6)
	v_mul_f64 v[59:60], v[43:44], v[47:48]
	v_and_b32_e32 v21, 0x3f0, v21
	v_fma_f64 v[75:76], v[97:98], v[101:102], -v[83:84]
	v_fma_f64 v[73:74], v[99:100], v[101:102], v[103:104]
	ds_read_b128 v[37:40], v22 offset:2048
	ds_read_b128 v[97:100], v23 offset:2048
	v_lshl_add_u32 v22, v24, 4, 0
	v_add_nc_u32_e32 v21, s2, v21
	ds_read_b128 v[109:112], v22 offset:32368
	ds_read_b128 v[113:116], v21 offset:1024
	v_fma_f64 v[21:22], v[25:26], v[33:34], -v[57:58]
	s_waitcnt lgkmcnt(4)
	v_mul_f64 v[25:26], v[95:96], v[107:108]
	v_add_nc_u32_e32 v32, v29, v61
	v_mul_f64 v[47:48], v[41:42], v[47:48]
	v_mul_f64 v[62:63], v[51:52], v[55:56]
	;; [unrolled: 1-line block ×3, first 2 shown]
	v_lshrrev_b32_e32 v29, 8, v29
	v_lshrrev_b32_e32 v30, 2, v32
	v_and_b32_e32 v23, 63, v32
	v_and_b32_e32 v29, 0x3f0, v29
	;; [unrolled: 1-line block ×3, first 2 shown]
	v_lshrrev_b32_e32 v30, 8, v32
	v_lshl_add_u32 v23, v23, 4, 0
	v_add_nc_u32_e32 v32, v32, v61
	v_add_nc_u32_e32 v29, s2, v29
	v_add_nc_u32_e32 v24, s2, v24
	v_and_b32_e32 v30, 0x3f0, v30
	ds_read_b128 v[55:58], v23 offset:32368
	ds_read_b128 v[117:120], v24 offset:1024
	v_fma_f64 v[23:24], v[27:28], v[33:34], v[35:36]
	v_fma_f64 v[25:26], v[93:94], v[105:106], -v[25:26]
	v_mul_f64 v[27:28], v[93:94], v[107:108]
	v_add_nc_u32_e32 v33, s2, v30
	v_fma_f64 v[30:31], v[41:42], v[45:46], -v[59:60]
	s_waitcnt lgkmcnt(2)
	v_mul_f64 v[41:42], v[111:112], v[115:116]
	v_fma_f64 v[121:122], v[43:44], v[45:46], v[47:48]
	ds_read_b128 v[45:48], v29 offset:2048
	ds_read_b128 v[233:236], v33 offset:2048
	buffer_store_dword v25, off, s[60:63], 0 offset:224 ; 4-byte Folded Spill
	buffer_store_dword v26, off, s[60:63], 0 offset:228 ; 4-byte Folded Spill
	v_fma_f64 v[25:26], v[95:96], v[105:106], v[27:28]
	v_mul_f64 v[43:44], v[109:110], v[115:116]
	v_lshrrev_b32_e32 v29, 2, v32
	v_fma_f64 v[41:42], v[109:110], v[113:114], -v[41:42]
	v_and_b32_e32 v33, 63, v32
	buffer_store_dword v25, off, s[60:63], 0 offset:232 ; 4-byte Folded Spill
	buffer_store_dword v26, off, s[60:63], 0 offset:236 ; 4-byte Folded Spill
	v_and_b32_e32 v29, 0x3f0, v29
	v_lshl_add_u32 v33, v33, 4, 0
	v_fma_f64 v[171:172], v[49:50], v[53:54], -v[62:63]
	s_waitcnt lgkmcnt(2)
	v_mul_f64 v[49:50], v[57:58], v[119:120]
	v_add_nc_u32_e32 v34, v32, v61
	v_add_nc_u32_e32 v29, s2, v29
	ds_read_b128 v[25:28], v33 offset:32368
	ds_read_b128 v[93:96], v29 offset:1024
	buffer_store_dword v41, off, s[60:63], 0 offset:176 ; 4-byte Folded Spill
	buffer_store_dword v42, off, s[60:63], 0 offset:180 ; 4-byte Folded Spill
	v_fma_f64 v[41:42], v[111:112], v[113:114], v[43:44]
	v_lshrrev_b32_e32 v35, 2, v34
	v_and_b32_e32 v29, 63, v34
	v_lshrrev_b32_e32 v32, 8, v32
	buffer_store_dword v41, off, s[60:63], 0 offset:184 ; 4-byte Folded Spill
	buffer_store_dword v42, off, s[60:63], 0 offset:188 ; 4-byte Folded Spill
	v_and_b32_e32 v33, 0x3f0, v35
	v_lshrrev_b32_e32 v35, 8, v34
	v_lshl_add_u32 v29, v29, 4, 0
	v_and_b32_e32 v32, 0x3f0, v32
	v_fma_f64 v[173:174], v[51:52], v[53:54], v[66:67]
	v_add_nc_u32_e32 v33, s2, v33
	v_and_b32_e32 v35, 0x3f0, v35
	ds_read_b128 v[105:108], v29 offset:32368
	ds_read_b128 v[109:112], v33 offset:1024
	v_add_nc_u32_e32 v29, s2, v32
	v_add_nc_u32_e32 v32, s2, v35
	v_fma_f64 v[35:36], v[55:56], v[117:118], -v[49:50]
	v_mul_f64 v[51:52], v[55:56], v[119:120]
	s_waitcnt lgkmcnt(2)
	v_mul_f64 v[53:54], v[27:28], v[95:96]
	buffer_store_dword v35, off, s[60:63], 0 offset:104 ; 4-byte Folded Spill
	buffer_store_dword v36, off, s[60:63], 0 offset:108 ; 4-byte Folded Spill
	v_fma_f64 v[35:36], v[57:58], v[117:118], v[51:52]
	v_mul_f64 v[55:56], v[25:26], v[95:96]
	v_fma_f64 v[25:26], v[25:26], v[93:94], -v[53:54]
	buffer_store_dword v35, off, s[60:63], 0 offset:112 ; 4-byte Folded Spill
	buffer_store_dword v36, off, s[60:63], 0 offset:116 ; 4-byte Folded Spill
	ds_read_b128 v[49:52], v29 offset:2048
	ds_read_b128 v[41:44], v32 offset:2048
	buffer_store_dword v25, off, s[60:63], 0 offset:120 ; 4-byte Folded Spill
	buffer_store_dword v26, off, s[60:63], 0 offset:124 ; 4-byte Folded Spill
	v_fma_f64 v[26:27], v[27:28], v[93:94], v[55:56]
	s_waitcnt lgkmcnt(2)
	v_mul_f64 v[57:58], v[107:108], v[111:112]
	v_add_nc_u32_e32 v29, v34, v61
	buffer_store_dword v26, off, s[60:63], 0 offset:128 ; 4-byte Folded Spill
	buffer_store_dword v27, off, s[60:63], 0 offset:132 ; 4-byte Folded Spill
	v_lshrrev_b32_e32 v32, 2, v29
	v_and_b32_e32 v26, 63, v29
	v_fma_f64 v[34:35], v[105:106], v[109:110], -v[57:58]
	v_mul_f64 v[59:60], v[105:106], v[111:112]
	v_add_nc_u32_e32 v33, v29, v61
	v_and_b32_e32 v25, 0x3f0, v32
	v_lshl_add_u32 v32, v26, 4, 0
	v_lshrrev_b32_e32 v29, 8, v29
	v_add_nc_u32_e32 v25, s2, v25
	ds_read_b128 v[93:96], v32 offset:32368
	v_lshrrev_b32_e32 v32, 8, v33
	v_and_b32_e32 v29, 0x3f0, v29
	ds_read_b128 v[25:28], v25 offset:1024
	buffer_store_dword v34, off, s[60:63], 0 offset:136 ; 4-byte Folded Spill
	buffer_store_dword v35, off, s[60:63], 0 offset:140 ; 4-byte Folded Spill
	v_fma_f64 v[34:35], v[107:108], v[109:110], v[59:60]
	buffer_store_dword v34, off, s[60:63], 0 offset:144 ; 4-byte Folded Spill
	buffer_store_dword v35, off, s[60:63], 0 offset:148 ; 4-byte Folded Spill
	s_waitcnt lgkmcnt(0)
	v_mul_f64 v[62:63], v[95:96], v[27:28]
	v_mul_f64 v[27:28], v[93:94], v[27:28]
	v_and_b32_e32 v32, 0x3f0, v32
	v_add_nc_u32_e32 v29, s2, v29
	v_add_nc_u32_e32 v32, s2, v32
	ds_read_b128 v[57:60], v29 offset:2048
	ds_read_b128 v[53:56], v32 offset:2048
	v_fma_f64 v[34:35], v[93:94], v[25:26], -v[62:63]
	v_fma_f64 v[25:26], v[95:96], v[25:26], v[27:28]
	buffer_store_dword v34, off, s[60:63], 0 offset:192 ; 4-byte Folded Spill
	buffer_store_dword v35, off, s[60:63], 0 offset:196 ; 4-byte Folded Spill
	;; [unrolled: 1-line block ×4, first 2 shown]
	v_lshrrev_b32_e32 v25, 2, v33
	v_and_b32_e32 v26, 63, v33
	v_and_b32_e32 v25, 0x3f0, v25
	v_lshl_add_u32 v26, v26, 4, 0
	v_add_nc_u32_e32 v29, s2, v25
	ds_read_b128 v[25:28], v26 offset:32368
	ds_read_b128 v[93:96], v29 offset:1024
	s_waitcnt lgkmcnt(0)
	v_mul_f64 v[62:63], v[27:28], v[95:96]
	v_fma_f64 v[34:35], v[25:26], v[93:94], -v[62:63]
	v_mul_f64 v[25:26], v[25:26], v[95:96]
	buffer_store_dword v34, off, s[60:63], 0 offset:208 ; 4-byte Folded Spill
	buffer_store_dword v35, off, s[60:63], 0 offset:212 ; 4-byte Folded Spill
	v_fma_f64 v[25:26], v[27:28], v[93:94], v[25:26]
	buffer_store_dword v25, off, s[60:63], 0 offset:216 ; 4-byte Folded Spill
	buffer_store_dword v26, off, s[60:63], 0 offset:220 ; 4-byte Folded Spill
	v_add_nc_u32_e32 v25, v33, v61
	v_add_nc_u32_e32 v27, v25, v61
	v_lshrrev_b32_e32 v26, 2, v25
	v_lshrrev_b32_e32 v28, 8, v25
	v_and_b32_e32 v25, 63, v25
	v_lshrrev_b32_e32 v29, 8, v27
	v_and_b32_e32 v26, 0x3f0, v26
	v_and_b32_e32 v28, 0x3f0, v28
	v_lshl_add_u32 v25, v25, 4, 0
	v_and_b32_e32 v29, 0x3f0, v29
	v_add_nc_u32_e32 v26, s2, v26
	v_add_nc_u32_e32 v28, s2, v28
	v_add_nc_u32_e32 v29, s2, v29
	ds_read_b128 v[93:96], v26 offset:1024
	ds_read_b128 v[105:108], v25 offset:32368
	;; [unrolled: 1-line block ×4, first 2 shown]
	v_mov_b32_e32 v29, v68
	s_waitcnt lgkmcnt(2)
	v_mul_f64 v[66:67], v[107:108], v[95:96]
	v_fma_f64 v[25:26], v[105:106], v[93:94], -v[66:67]
	v_mul_f64 v[66:67], v[105:106], v[95:96]
	buffer_store_dword v25, off, s[60:63], 0 offset:680 ; 4-byte Folded Spill
	buffer_store_dword v26, off, s[60:63], 0 offset:684 ; 4-byte Folded Spill
	v_fma_f64 v[25:26], v[107:108], v[93:94], v[66:67]
	buffer_store_dword v25, off, s[60:63], 0 offset:688 ; 4-byte Folded Spill
	buffer_store_dword v26, off, s[60:63], 0 offset:692 ; 4-byte Folded Spill
	v_mul_lo_u32 v25, v29, v65
	buffer_store_dword v29, off, s[60:63], 0 offset:76 ; 4-byte Folded Spill
	v_lshrrev_b32_e32 v26, 2, v25
	v_lshrrev_b32_e32 v28, 8, v25
	v_and_b32_e32 v25, 63, v25
	v_and_b32_e32 v26, 0x3f0, v26
	;; [unrolled: 1-line block ×3, first 2 shown]
	v_lshl_add_u32 v25, v25, 4, 0
	v_add_nc_u32_e32 v26, s2, v26
	v_add_nc_u32_e32 v28, s2, v28
	ds_read_b128 v[93:96], v26 offset:1024
	ds_read_b128 v[109:112], v25 offset:32368
	;; [unrolled: 1-line block ×3, first 2 shown]
	s_waitcnt lgkmcnt(1)
	v_mul_f64 v[70:71], v[111:112], v[95:96]
	v_fma_f64 v[25:26], v[109:110], v[93:94], -v[70:71]
	v_mul_f64 v[70:71], v[109:110], v[95:96]
	buffer_store_dword v25, off, s[60:63], 0 offset:720 ; 4-byte Folded Spill
	buffer_store_dword v26, off, s[60:63], 0 offset:724 ; 4-byte Folded Spill
	v_fma_f64 v[25:26], v[111:112], v[93:94], v[70:71]
	buffer_store_dword v25, off, s[60:63], 0 offset:728 ; 4-byte Folded Spill
	buffer_store_dword v26, off, s[60:63], 0 offset:732 ; 4-byte Folded Spill
	v_lshrrev_b32_e32 v25, 2, v27
	v_and_b32_e32 v26, 63, v27
	v_and_b32_e32 v25, 0x3f0, v25
	v_lshl_add_u32 v26, v26, 4, 0
	v_add_nc_u32_e32 v25, s2, v25
	ds_read_b128 v[109:112], v26 offset:32368
	ds_read_b128 v[113:116], v25 offset:1024
	s_waitcnt lgkmcnt(0)
	v_mul_f64 v[70:71], v[111:112], v[115:116]
	v_fma_f64 v[25:26], v[109:110], v[113:114], -v[70:71]
	v_mul_f64 v[70:71], v[109:110], v[115:116]
	buffer_store_dword v25, off, s[60:63], 0 offset:152 ; 4-byte Folded Spill
	buffer_store_dword v26, off, s[60:63], 0 offset:156 ; 4-byte Folded Spill
	v_fma_f64 v[25:26], v[111:112], v[113:114], v[70:71]
	buffer_store_dword v25, off, s[60:63], 0 offset:80 ; 4-byte Folded Spill
	buffer_store_dword v26, off, s[60:63], 0 offset:84 ; 4-byte Folded Spill
	v_lshlrev_b32_e32 v25, 8, v29
	global_load_dwordx4 v[69:72], v25, s[20:21] offset:112
	ds_read_b128 v[109:112], v0 offset:15232
	ds_read_b128 v[113:116], v0 offset:17136
	global_load_dwordx4 v[117:120], v25, s[20:21] offset:96
	s_waitcnt vmcnt(1) lgkmcnt(1)
	v_mul_f64 v[77:78], v[111:112], v[71:72]
	v_mul_f64 v[71:72], v[109:110], v[71:72]
	v_fma_f64 v[95:96], v[109:110], v[69:70], v[77:78]
	v_fma_f64 v[101:102], v[111:112], v[69:70], -v[71:72]
	s_clause 0x1
	global_load_dwordx4 v[69:72], v25, s[20:21] offset:128
	global_load_dwordx4 v[109:112], v25, s[20:21] offset:144
	s_waitcnt vmcnt(1) lgkmcnt(0)
	v_mul_f64 v[77:78], v[115:116], v[71:72]
	v_mul_f64 v[71:72], v[113:114], v[71:72]
	v_fma_f64 v[107:108], v[113:114], v[69:70], v[77:78]
	v_fma_f64 v[123:124], v[115:116], v[69:70], -v[71:72]
	ds_read_b128 v[69:72], v0 offset:13328
	ds_read_b128 v[113:116], v0 offset:11424
	s_waitcnt lgkmcnt(1)
	v_mul_f64 v[77:78], v[71:72], v[119:120]
	v_fma_f64 v[129:130], v[69:70], v[117:118], v[77:78]
	v_mul_f64 v[69:70], v[69:70], v[119:120]
	v_fma_f64 v[131:132], v[71:72], v[117:118], -v[69:70]
	ds_read_b128 v[69:72], v0 offset:19040
	ds_read_b128 v[117:120], v0 offset:20944
	s_waitcnt vmcnt(0) lgkmcnt(1)
	v_mul_f64 v[77:78], v[71:72], v[111:112]
	v_fma_f64 v[125:126], v[69:70], v[109:110], v[77:78]
	v_mul_f64 v[69:70], v[69:70], v[111:112]
	v_fma_f64 v[127:128], v[71:72], v[109:110], -v[69:70]
	s_clause 0x1
	global_load_dwordx4 v[69:72], v25, s[20:21] offset:80
	global_load_dwordx4 v[109:112], v25, s[20:21] offset:64
	s_waitcnt vmcnt(1)
	v_mul_f64 v[77:78], v[115:116], v[71:72]
	v_mul_f64 v[71:72], v[113:114], v[71:72]
	v_fma_f64 v[147:148], v[113:114], v[69:70], v[77:78]
	v_fma_f64 v[149:150], v[115:116], v[69:70], -v[71:72]
	s_clause 0x1
	global_load_dwordx4 v[69:72], v25, s[20:21] offset:160
	global_load_dwordx4 v[113:116], v25, s[20:21] offset:176
	s_waitcnt vmcnt(1) lgkmcnt(0)
	v_mul_f64 v[77:78], v[119:120], v[71:72]
	v_mul_f64 v[71:72], v[117:118], v[71:72]
	v_fma_f64 v[133:134], v[117:118], v[69:70], v[77:78]
	v_fma_f64 v[139:140], v[119:120], v[69:70], -v[71:72]
	ds_read_b128 v[69:72], v0 offset:9520
	ds_read_b128 v[117:120], v0 offset:7616
	s_waitcnt lgkmcnt(1)
	v_mul_f64 v[77:78], v[71:72], v[111:112]
	v_fma_f64 v[151:152], v[69:70], v[109:110], v[77:78]
	v_mul_f64 v[69:70], v[69:70], v[111:112]
	v_fma_f64 v[153:154], v[71:72], v[109:110], -v[69:70]
	ds_read_b128 v[69:72], v0 offset:22848
	ds_read_b128 v[109:112], v0 offset:24752
	s_waitcnt vmcnt(0) lgkmcnt(1)
	v_mul_f64 v[77:78], v[71:72], v[115:116]
	v_fma_f64 v[28:29], v[69:70], v[113:114], v[77:78]
	v_mul_f64 v[69:70], v[69:70], v[115:116]
	v_fma_f64 v[141:142], v[71:72], v[113:114], -v[69:70]
	s_clause 0x1
	global_load_dwordx4 v[69:72], v25, s[20:21] offset:48
	global_load_dwordx4 v[113:116], v25, s[20:21] offset:32
	s_waitcnt vmcnt(1)
	v_mul_f64 v[77:78], v[119:120], v[71:72]
	v_mul_f64 v[71:72], v[117:118], v[71:72]
	v_fma_f64 v[155:156], v[117:118], v[69:70], v[77:78]
	v_fma_f64 v[157:158], v[119:120], v[69:70], -v[71:72]
	s_clause 0x1
	global_load_dwordx4 v[69:72], v25, s[20:21] offset:192
	global_load_dwordx4 v[117:120], v25, s[20:21] offset:208
	s_waitcnt vmcnt(1) lgkmcnt(0)
	v_mul_f64 v[77:78], v[111:112], v[71:72]
	v_mul_f64 v[71:72], v[109:110], v[71:72]
	v_fma_f64 v[143:144], v[109:110], v[69:70], v[77:78]
	v_fma_f64 v[145:146], v[111:112], v[69:70], -v[71:72]
	ds_read_b128 v[69:72], v0 offset:5712
	ds_read_b128 v[109:112], v0 offset:3808
	s_waitcnt lgkmcnt(1)
	v_mul_f64 v[77:78], v[71:72], v[115:116]
	v_fma_f64 v[159:160], v[69:70], v[113:114], v[77:78]
	v_mul_f64 v[69:70], v[69:70], v[115:116]
	v_fma_f64 v[161:162], v[71:72], v[113:114], -v[69:70]
	s_clause 0x1
	global_load_dwordx4 v[69:72], v25, s[20:21] offset:16
	global_load_dwordx4 v[113:116], v25, s[20:21]
	s_waitcnt vmcnt(1) lgkmcnt(0)
	v_mul_f64 v[77:78], v[111:112], v[71:72]
	v_mul_f64 v[71:72], v[109:110], v[71:72]
	v_fma_f64 v[163:164], v[109:110], v[69:70], v[77:78]
	v_fma_f64 v[167:168], v[111:112], v[69:70], -v[71:72]
	ds_read_b128 v[109:112], v0 offset:1904
	ds_read_b128 v[69:72], v0
	s_waitcnt vmcnt(0) lgkmcnt(1)
	v_mul_f64 v[77:78], v[111:112], v[115:116]
	v_mul_f64 v[93:94], v[109:110], v[115:116]
	v_fma_f64 v[165:166], v[109:110], v[113:114], v[77:78]
	v_fma_f64 v[187:188], v[111:112], v[113:114], -v[93:94]
	s_clause 0x1
	global_load_dwordx4 v[109:112], v25, s[20:21] offset:240
	global_load_dwordx4 v[113:116], v25, s[20:21] offset:224
	ds_read_b128 v[135:138], v0 offset:30464
	s_waitcnt vmcnt(1) lgkmcnt(0)
	v_mul_f64 v[93:94], v[137:138], v[111:112]
	v_fma_f64 v[25:26], v[135:136], v[109:110], v[93:94]
	v_mul_f64 v[93:94], v[135:136], v[111:112]
	v_fma_f64 v[32:33], v[137:138], v[109:110], -v[93:94]
	ds_read_b128 v[109:112], v0 offset:28560
	ds_read_b128 v[135:138], v0 offset:26656
	buffer_store_dword v25, off, s[60:63], 0 offset:248 ; 4-byte Folded Spill
	buffer_store_dword v26, off, s[60:63], 0 offset:252 ; 4-byte Folded Spill
	;; [unrolled: 1-line block ×4, first 2 shown]
	s_waitcnt vmcnt(0) lgkmcnt(1)
	v_mul_f64 v[93:94], v[111:112], v[115:116]
	v_fma_f64 v[34:35], v[109:110], v[113:114], v[93:94]
	v_mul_f64 v[93:94], v[109:110], v[115:116]
	v_fma_f64 v[113:114], v[111:112], v[113:114], -v[93:94]
	s_waitcnt lgkmcnt(0)
	v_mul_f64 v[93:94], v[137:138], v[119:120]
	v_fma_f64 v[115:116], v[135:136], v[117:118], v[93:94]
	v_mul_f64 v[93:94], v[135:136], v[119:120]
	v_fma_f64 v[117:118], v[137:138], v[117:118], -v[93:94]
	v_mul_f64 v[93:94], v[89:90], v[3:4]
	v_mul_f64 v[3:4], v[91:92], v[3:4]
	v_fma_f64 v[93:94], v[1:2], v[91:92], -v[93:94]
	v_fma_f64 v[2:3], v[1:2], v[89:90], v[3:4]
	v_mul_f64 v[0:1], v[85:86], v[7:8]
	v_fma_f64 v[91:92], v[5:6], v[87:88], -v[0:1]
	v_mul_f64 v[0:1], v[87:88], v[7:8]
	v_fma_f64 v[87:88], v[5:6], v[85:86], v[0:1]
	v_mul_f64 v[0:1], v[81:82], v[11:12]
	v_fma_f64 v[109:110], v[9:10], v[79:80], -v[0:1]
	v_mul_f64 v[0:1], v[79:80], v[11:12]
	;; [unrolled: 4-line block ×4, first 2 shown]
	v_add_f64 v[73:74], v[165:166], -v[25:26]
	v_fma_f64 v[77:78], v[189:190], v[23:24], v[0:1]
	v_mul_f64 v[0:1], v[121:122], v[19:20]
	v_add_f64 v[14:15], v[187:188], v[32:33]
	v_add_f64 v[251:252], v[187:188], -v[32:33]
	v_fma_f64 v[105:106], v[17:18], v[30:31], -v[0:1]
	v_mul_f64 v[0:1], v[30:31], v[19:20]
	v_mul_f64 v[169:170], v[251:252], s[50:51]
	v_fma_f64 v[103:104], v[17:18], v[121:122], v[0:1]
	v_mul_f64 v[0:1], v[73:74], s[44:45]
	buffer_store_dword v0, off, s[60:63], 0 offset:752 ; 4-byte Folded Spill
	buffer_store_dword v1, off, s[60:63], 0 offset:756 ; 4-byte Folded Spill
	;; [unrolled: 1-line block ×10, first 2 shown]
	v_fma_f64 v[0:1], v[14:15], s[6:7], v[0:1]
	v_add_f64 v[249:250], v[163:164], -v[34:35]
	v_add_f64 v[75:76], v[167:168], v[113:114]
	v_add_f64 v[253:254], v[167:168], -v[113:114]
	v_add_f64 v[195:196], v[163:164], v[34:35]
	v_mul_f64 v[163:164], v[251:252], s[54:55]
	v_add_f64 v[0:1], v[71:72], v[0:1]
	v_mul_f64 v[8:9], v[249:250], s[50:51]
	buffer_store_dword v8, off, s[60:63], 0 offset:288 ; 4-byte Folded Spill
	buffer_store_dword v9, off, s[60:63], 0 offset:292 ; 4-byte Folded Spill
	v_mul_f64 v[113:114], v[253:254], s[52:53]
	v_fma_f64 v[16:17], v[75:76], s[24:25], v[8:9]
	v_add_f64 v[8:9], v[165:166], v[25:26]
	v_add_f64 v[16:17], v[16:17], v[0:1]
	v_mul_f64 v[0:1], v[251:252], s[44:45]
	buffer_store_dword v0, off, s[60:63], 0 offset:776 ; 4-byte Folded Spill
	buffer_store_dword v1, off, s[60:63], 0 offset:780 ; 4-byte Folded Spill
	v_fma_f64 v[18:19], v[8:9], s[6:7], -v[0:1]
	v_mul_f64 v[0:1], v[253:254], s[50:51]
	buffer_store_dword v0, off, s[60:63], 0 offset:352 ; 4-byte Folded Spill
	buffer_store_dword v1, off, s[60:63], 0 offset:356 ; 4-byte Folded Spill
	buffer_store_dword v115, off, s[60:63], 0 offset:280 ; 4-byte Folded Spill
	buffer_store_dword v116, off, s[60:63], 0 offset:284 ; 4-byte Folded Spill
	buffer_store_dword v159, off, s[60:63], 0 offset:472 ; 4-byte Folded Spill
	buffer_store_dword v160, off, s[60:63], 0 offset:476 ; 4-byte Folded Spill
	buffer_store_dword v117, off, s[60:63], 0 offset:272 ; 4-byte Folded Spill
	buffer_store_dword v118, off, s[60:63], 0 offset:276 ; 4-byte Folded Spill
	buffer_store_dword v161, off, s[60:63], 0 offset:464 ; 4-byte Folded Spill
	buffer_store_dword v162, off, s[60:63], 0 offset:468 ; 4-byte Folded Spill
	v_add_f64 v[18:19], v[69:70], v[18:19]
	v_fma_f64 v[20:21], v[195:196], s[24:25], -v[0:1]
	v_add_f64 v[26:27], v[159:160], -v[115:116]
	v_add_f64 v[79:80], v[161:162], v[117:118]
	v_add_f64 v[34:35], v[161:162], -v[117:118]
	v_add_f64 v[207:208], v[159:160], v[115:116]
	v_mul_f64 v[161:162], v[73:74], s[50:51]
	v_mul_f64 v[159:160], v[253:254], s[56:57]
	v_add_f64 v[18:19], v[20:21], v[18:19]
	v_mul_f64 v[0:1], v[26:27], s[54:55]
	buffer_store_dword v0, off, s[60:63], 0 offset:296 ; 4-byte Folded Spill
	buffer_store_dword v1, off, s[60:63], 0 offset:300 ; 4-byte Folded Spill
	v_mul_f64 v[167:168], v[26:27], s[52:53]
	v_fma_f64 v[20:21], v[79:80], s[12:13], v[0:1]
	v_mul_f64 v[0:1], v[34:35], s[54:55]
	buffer_store_dword v0, off, s[60:63], 0 offset:376 ; 4-byte Folded Spill
	buffer_store_dword v1, off, s[60:63], 0 offset:380 ; 4-byte Folded Spill
	;; [unrolled: 1-line block ×10, first 2 shown]
	v_add_f64 v[16:17], v[20:21], v[16:17]
	v_fma_f64 v[20:21], v[207:208], s[12:13], -v[0:1]
	v_add_f64 v[24:25], v[155:156], -v[143:144]
	v_add_f64 v[32:33], v[157:158], -v[145:146]
	v_add_f64 v[81:82], v[157:158], v[145:146]
	v_add_f64 v[209:210], v[155:156], v[143:144]
	v_mul_f64 v[155:156], v[249:250], s[56:57]
	v_mul_f64 v[157:158], v[34:35], s[40:41]
	v_add_f64 v[18:19], v[20:21], v[18:19]
	v_mul_f64 v[12:13], v[24:25], s[46:47]
	buffer_store_dword v12, off, s[60:63], 0 offset:304 ; 4-byte Folded Spill
	buffer_store_dword v13, off, s[60:63], 0 offset:308 ; 4-byte Folded Spill
	v_mul_f64 v[0:1], v[32:33], s[46:47]
	buffer_store_dword v0, off, s[60:63], 0 offset:384 ; 4-byte Folded Spill
	buffer_store_dword v1, off, s[60:63], 0 offset:388 ; 4-byte Folded Spill
	v_mul_f64 v[145:146], v[24:25], s[54:55]
	v_mul_f64 v[119:120], v[24:25], s[30:31]
	v_fma_f64 v[20:21], v[81:82], s[18:19], v[12:13]
	v_add_f64 v[16:17], v[20:21], v[16:17]
	v_fma_f64 v[20:21], v[209:210], s[18:19], -v[0:1]
	v_mov_b32_e32 v0, v28
	v_mov_b32_e32 v1, v29
	buffer_store_dword v0, off, s[60:63], 0 offset:424 ; 4-byte Folded Spill
	buffer_store_dword v1, off, s[60:63], 0 offset:428 ; 4-byte Folded Spill
	;; [unrolled: 1-line block ×8, first 2 shown]
	v_add_f64 v[18:19], v[20:21], v[18:19]
	v_add_f64 v[12:13], v[151:152], -v[0:1]
	v_add_f64 v[28:29], v[153:154], -v[141:142]
	v_add_f64 v[213:214], v[151:152], v[0:1]
	v_add_f64 v[85:86], v[153:154], v[141:142]
	v_mul_f64 v[153:154], v[32:33], s[54:55]
	v_mul_f64 v[20:21], v[12:13], s[26:27]
	;; [unrolled: 1-line block ×3, first 2 shown]
	buffer_store_dword v20, off, s[60:63], 0 offset:312 ; 4-byte Folded Spill
	buffer_store_dword v21, off, s[60:63], 0 offset:316 ; 4-byte Folded Spill
	;; [unrolled: 1-line block ×12, first 2 shown]
	v_mul_f64 v[141:142], v[12:13], s[34:35]
	v_mul_f64 v[151:152], v[28:29], s[34:35]
	;; [unrolled: 1-line block ×3, first 2 shown]
	v_fma_f64 v[20:21], v[85:86], s[22:23], v[20:21]
	v_add_f64 v[6:7], v[147:148], -v[133:134]
	v_add_f64 v[89:90], v[149:150], v[139:140]
	v_add_f64 v[217:218], v[147:148], v[133:134]
	v_add_f64 v[16:17], v[20:21], v[16:17]
	v_fma_f64 v[20:21], v[213:214], s[22:23], -v[0:1]
	v_mul_f64 v[0:1], v[6:7], s[28:29]
	buffer_store_dword v0, off, s[60:63], 0 offset:320 ; 4-byte Folded Spill
	buffer_store_dword v1, off, s[60:63], 0 offset:324 ; 4-byte Folded Spill
	v_add_f64 v[18:19], v[20:21], v[18:19]
	v_mul_f64 v[133:134], v[6:7], s[36:37]
	v_mul_f64 v[115:116], v[6:7], s[50:51]
	v_fma_f64 v[20:21], v[89:90], s[14:15], v[0:1]
	v_add_f64 v[0:1], v[149:150], -v[139:140]
	v_mul_f64 v[149:150], v[26:27], s[40:41]
	v_add_f64 v[16:17], v[20:21], v[16:17]
	v_mul_f64 v[4:5], v[0:1], s[28:29]
	buffer_store_dword v4, off, s[60:63], 0 offset:400 ; 4-byte Folded Spill
	buffer_store_dword v5, off, s[60:63], 0 offset:404 ; 4-byte Folded Spill
	;; [unrolled: 1-line block ×10, first 2 shown]
	v_mul_f64 v[147:148], v[0:1], s[36:37]
	v_fma_f64 v[20:21], v[217:218], s[14:15], -v[4:5]
	v_add_f64 v[4:5], v[129:130], -v[125:126]
	v_add_f64 v[22:23], v[131:132], -v[127:128]
	v_add_f64 v[189:190], v[131:132], v[127:128]
	v_add_f64 v[221:222], v[129:130], v[125:126]
	v_mul_f64 v[127:128], v[73:74], s[54:55]
	v_mul_f64 v[129:130], v[251:252], s[46:47]
	;; [unrolled: 1-line block ×3, first 2 shown]
	v_add_f64 v[18:19], v[20:21], v[18:19]
	v_mul_f64 v[20:21], v[4:5], s[30:31]
	buffer_store_dword v20, off, s[60:63], 0 offset:336 ; 4-byte Folded Spill
	buffer_store_dword v21, off, s[60:63], 0 offset:340 ; 4-byte Folded Spill
	v_mul_f64 v[10:11], v[22:23], s[30:31]
	buffer_store_dword v10, off, s[60:63], 0 offset:408 ; 4-byte Folded Spill
	buffer_store_dword v11, off, s[60:63], 0 offset:412 ; 4-byte Folded Spill
	;; [unrolled: 1-line block ×10, first 2 shown]
	v_mul_f64 v[131:132], v[4:5], s[44:45]
	v_mul_f64 v[143:144], v[22:23], s[44:45]
	v_fma_f64 v[20:21], v[189:190], s[10:11], v[20:21]
	v_add_f64 v[16:17], v[20:21], v[16:17]
	v_fma_f64 v[20:21], v[221:222], s[10:11], -v[10:11]
	v_add_f64 v[10:11], v[101:102], -v[123:124]
	v_add_f64 v[199:200], v[95:96], v[107:108]
	v_add_f64 v[30:31], v[95:96], -v[107:108]
	v_add_f64 v[197:198], v[101:102], v[123:124]
	v_mul_f64 v[123:124], v[249:250], s[52:53]
	v_mul_f64 v[107:108], v[34:35], s[44:45]
	;; [unrolled: 1-line block ×4, first 2 shown]
	v_add_f64 v[18:19], v[20:21], v[18:19]
	v_mul_f64 v[20:21], v[10:11], s[34:35]
	buffer_store_dword v20, off, s[60:63], 0 offset:368 ; 4-byte Folded Spill
	buffer_store_dword v21, off, s[60:63], 0 offset:372 ; 4-byte Folded Spill
	v_mul_f64 v[139:140], v[10:11], s[28:29]
	v_fma_f64 v[20:21], v[199:200], s[8:9], -v[20:21]
	v_add_f64 v[18:19], v[20:21], v[18:19]
	v_mul_f64 v[20:21], v[30:31], s[34:35]
	buffer_store_dword v20, off, s[60:63], 0 offset:360 ; 4-byte Folded Spill
	buffer_store_dword v21, off, s[60:63], 0 offset:364 ; 4-byte Folded Spill
	v_fma_f64 v[20:21], v[197:198], s[8:9], v[20:21]
	v_add_f64 v[16:17], v[20:21], v[16:17]
	v_mul_f64 v[20:21], v[18:19], v[2:3]
	v_mul_f64 v[2:3], v[16:17], v[2:3]
	v_fma_f64 v[20:21], v[16:17], v[93:94], -v[20:21]
	v_fma_f64 v[16:17], v[14:15], s[24:25], v[161:162]
	v_fma_f64 v[18:19], v[18:19], v[93:94], v[2:3]
	v_mul_f64 v[2:3], v[249:250], s[46:47]
	buffer_store_dword v18, off, s[60:63], 0 offset:12 ; 4-byte Folded Spill
	buffer_store_dword v19, off, s[60:63], 0 offset:16 ; 4-byte Folded Spill
	;; [unrolled: 1-line block ×6, first 2 shown]
	v_fma_f64 v[20:21], v[8:9], s[24:25], -v[169:170]
	v_add_f64 v[16:17], v[71:72], v[16:17]
	v_add_f64 v[20:21], v[69:70], v[20:21]
	v_fma_f64 v[18:19], v[75:76], s[18:19], v[2:3]
	v_mul_f64 v[2:3], v[253:254], s[46:47]
	buffer_store_dword v2, off, s[60:63], 0 offset:632 ; 4-byte Folded Spill
	buffer_store_dword v3, off, s[60:63], 0 offset:636 ; 4-byte Folded Spill
	v_add_f64 v[16:17], v[18:19], v[16:17]
	v_fma_f64 v[93:94], v[195:196], s[18:19], -v[2:3]
	v_mul_f64 v[2:3], v[26:27], s[28:29]
	buffer_store_dword v2, off, s[60:63], 0 offset:696 ; 4-byte Folded Spill
	buffer_store_dword v3, off, s[60:63], 0 offset:700 ; 4-byte Folded Spill
	v_add_f64 v[20:21], v[93:94], v[20:21]
	v_fma_f64 v[93:94], v[79:80], s[14:15], v[2:3]
	v_mul_f64 v[2:3], v[34:35], s[28:29]
	buffer_store_dword v2, off, s[60:63], 0 offset:640 ; 4-byte Folded Spill
	buffer_store_dword v3, off, s[60:63], 0 offset:644 ; 4-byte Folded Spill
	v_add_f64 v[16:17], v[93:94], v[16:17]
	v_fma_f64 v[93:94], v[207:208], s[14:15], -v[2:3]
	v_mul_f64 v[2:3], v[24:25], s[34:35]
	buffer_store_dword v2, off, s[60:63], 0 offset:704 ; 4-byte Folded Spill
	buffer_store_dword v3, off, s[60:63], 0 offset:708 ; 4-byte Folded Spill
	;; [unrolled: 10-line block ×6, first 2 shown]
	v_add_f64 v[20:21], v[93:94], v[20:21]
	v_fma_f64 v[93:94], v[199:200], s[6:7], -v[2:3]
	v_mul_f64 v[2:3], v[30:31], s[42:43]
	buffer_store_dword v2, off, s[60:63], 0 offset:592 ; 4-byte Folded Spill
	buffer_store_dword v3, off, s[60:63], 0 offset:596 ; 4-byte Folded Spill
	v_add_f64 v[20:21], v[93:94], v[20:21]
	v_fma_f64 v[93:94], v[197:198], s[6:7], v[2:3]
	v_mul_f64 v[2:3], v[249:250], s[28:29]
	v_add_f64 v[16:17], v[93:94], v[16:17]
	v_mul_f64 v[93:94], v[20:21], v[87:88]
	v_mul_f64 v[87:88], v[16:17], v[87:88]
	v_fma_f64 v[18:19], v[16:17], v[91:92], -v[93:94]
	v_mul_f64 v[93:94], v[0:1], s[50:51]
	v_fma_f64 v[16:17], v[20:21], v[91:92], v[87:88]
	buffer_store_dword v16, off, s[60:63], 0 offset:28 ; 4-byte Folded Spill
	buffer_store_dword v17, off, s[60:63], 0 offset:32 ; 4-byte Folded Spill
	;; [unrolled: 1-line block ×6, first 2 shown]
	v_fma_f64 v[16:17], v[14:15], s[12:13], v[127:128]
	v_add_f64 v[16:17], v[71:72], v[16:17]
	v_fma_f64 v[20:21], v[75:76], s[14:15], v[2:3]
	v_mul_f64 v[2:3], v[253:254], s[28:29]
	buffer_store_dword v2, off, s[60:63], 0 offset:736 ; 4-byte Folded Spill
	buffer_store_dword v3, off, s[60:63], 0 offset:740 ; 4-byte Folded Spill
	v_add_f64 v[16:17], v[20:21], v[16:17]
	v_fma_f64 v[20:21], v[8:9], s[12:13], -v[163:164]
	v_add_f64 v[20:21], v[69:70], v[20:21]
	v_fma_f64 v[87:88], v[195:196], s[14:15], -v[2:3]
	v_mul_f64 v[2:3], v[26:27], s[58:59]
	buffer_store_dword v2, off, s[60:63], 0 offset:792 ; 4-byte Folded Spill
	buffer_store_dword v3, off, s[60:63], 0 offset:796 ; 4-byte Folded Spill
	v_add_f64 v[20:21], v[87:88], v[20:21]
	v_fma_f64 v[87:88], v[79:80], s[8:9], v[2:3]
	v_mul_f64 v[2:3], v[34:35], s[58:59]
	buffer_store_dword v2, off, s[60:63], 0 offset:744 ; 4-byte Folded Spill
	buffer_store_dword v3, off, s[60:63], 0 offset:748 ; 4-byte Folded Spill
	v_add_f64 v[16:17], v[87:88], v[16:17]
	v_fma_f64 v[87:88], v[207:208], s[8:9], -v[2:3]
	v_mul_f64 v[2:3], v[24:25], s[52:53]
	buffer_store_dword v2, off, s[60:63], 0 offset:808 ; 4-byte Folded Spill
	buffer_store_dword v3, off, s[60:63], 0 offset:812 ; 4-byte Folded Spill
	v_add_f64 v[20:21], v[87:88], v[20:21]
	v_fma_f64 v[87:88], v[81:82], s[22:23], v[2:3]
	v_mul_f64 v[2:3], v[32:33], s[52:53]
	buffer_store_dword v2, off, s[60:63], 0 offset:768 ; 4-byte Folded Spill
	buffer_store_dword v3, off, s[60:63], 0 offset:772 ; 4-byte Folded Spill
	;; [unrolled: 10-line block ×3, first 2 shown]
	v_add_f64 v[16:17], v[87:88], v[16:17]
	v_fma_f64 v[87:88], v[213:214], s[24:25], -v[2:3]
	v_mul_f64 v[2:3], v[6:7], s[44:45]
	buffer_store_dword v2, off, s[60:63], 0 offset:848 ; 4-byte Folded Spill
	buffer_store_dword v3, off, s[60:63], 0 offset:852 ; 4-byte Folded Spill
	v_add_f64 v[87:88], v[87:88], v[20:21]
	v_mul_f64 v[20:21], v[30:31], s[38:39]
	v_fma_f64 v[91:92], v[89:90], s[6:7], v[2:3]
	v_mul_f64 v[2:3], v[0:1], s[44:45]
	buffer_store_dword v2, off, s[60:63], 0 offset:800 ; 4-byte Folded Spill
	buffer_store_dword v3, off, s[60:63], 0 offset:804 ; 4-byte Folded Spill
	v_add_f64 v[16:17], v[91:92], v[16:17]
	v_fma_f64 v[91:92], v[217:218], s[6:7], -v[2:3]
	v_mul_f64 v[2:3], v[4:5], s[46:47]
	buffer_store_dword v2, off, s[60:63], 0 offset:856 ; 4-byte Folded Spill
	buffer_store_dword v3, off, s[60:63], 0 offset:860 ; 4-byte Folded Spill
	v_add_f64 v[87:88], v[91:92], v[87:88]
	v_fma_f64 v[91:92], v[189:190], s[18:19], v[2:3]
	v_mul_f64 v[2:3], v[22:23], s[46:47]
	buffer_store_dword v2, off, s[60:63], 0 offset:816 ; 4-byte Folded Spill
	buffer_store_dword v3, off, s[60:63], 0 offset:820 ; 4-byte Folded Spill
	v_add_f64 v[16:17], v[91:92], v[16:17]
	v_fma_f64 v[91:92], v[221:222], s[18:19], -v[2:3]
	v_mul_f64 v[2:3], v[10:11], s[30:31]
	buffer_store_dword v2, off, s[60:63], 0 offset:832 ; 4-byte Folded Spill
	buffer_store_dword v3, off, s[60:63], 0 offset:836 ; 4-byte Folded Spill
	v_add_f64 v[87:88], v[91:92], v[87:88]
	v_mul_f64 v[91:92], v[22:23], s[34:35]
	v_fma_f64 v[121:122], v[199:200], s[10:11], -v[2:3]
	v_mul_f64 v[2:3], v[30:31], s[30:31]
	buffer_store_dword v2, off, s[60:63], 0 offset:840 ; 4-byte Folded Spill
	buffer_store_dword v3, off, s[60:63], 0 offset:844 ; 4-byte Folded Spill
	v_add_f64 v[121:122], v[121:122], v[87:88]
	v_fma_f64 v[87:88], v[8:9], s[18:19], -v[129:130]
	v_fma_f64 v[245:246], v[197:198], s[10:11], v[2:3]
	v_mul_f64 v[2:3], v[249:250], s[34:35]
	v_add_f64 v[16:17], v[245:246], v[16:17]
	v_mul_f64 v[245:246], v[121:122], v[111:112]
	v_mul_f64 v[111:112], v[16:17], v[111:112]
	v_fma_f64 v[18:19], v[16:17], v[109:110], -v[245:246]
	v_mul_f64 v[245:246], v[73:74], s[46:47]
	v_fma_f64 v[16:17], v[121:122], v[109:110], v[111:112]
	buffer_store_dword v16, off, s[60:63], 0 offset:44 ; 4-byte Folded Spill
	buffer_store_dword v17, off, s[60:63], 0 offset:48 ; 4-byte Folded Spill
	;; [unrolled: 1-line block ×6, first 2 shown]
	v_fma_f64 v[16:17], v[14:15], s[18:19], v[245:246]
	v_add_f64 v[111:112], v[69:70], v[87:88]
	v_mul_f64 v[87:88], v[10:11], s[38:39]
	v_add_f64 v[16:17], v[71:72], v[16:17]
	v_fma_f64 v[109:110], v[75:76], s[8:9], v[2:3]
	v_mul_f64 v[2:3], v[253:254], s[34:35]
	buffer_store_dword v2, off, s[60:63], 0 offset:864 ; 4-byte Folded Spill
	buffer_store_dword v3, off, s[60:63], 0 offset:868 ; 4-byte Folded Spill
	v_add_f64 v[109:110], v[109:110], v[16:17]
	v_fma_f64 v[121:122], v[195:196], s[8:9], -v[2:3]
	v_mul_f64 v[2:3], v[34:35], s[52:53]
	buffer_store_dword v2, off, s[60:63], 0 offset:872 ; 4-byte Folded Spill
	buffer_store_dword v3, off, s[60:63], 0 offset:876 ; 4-byte Folded Spill
	v_add_f64 v[111:112], v[121:122], v[111:112]
	v_fma_f64 v[121:122], v[79:80], s[22:23], v[167:168]
	v_add_f64 v[109:110], v[121:122], v[109:110]
	v_mul_f64 v[121:122], v[26:27], s[44:45]
	v_fma_f64 v[247:248], v[207:208], s[22:23], -v[2:3]
	v_add_f64 v[111:112], v[247:248], v[111:112]
	v_mul_f64 v[247:248], v[24:25], s[42:43]
	v_fma_f64 v[243:244], v[81:82], s[6:7], v[247:248]
	v_add_f64 v[109:110], v[243:244], v[109:110]
	v_mul_f64 v[243:244], v[32:33], s[42:43]
	v_fma_f64 v[241:242], v[209:210], s[6:7], -v[243:244]
	v_add_f64 v[111:112], v[241:242], v[111:112]
	v_mul_f64 v[241:242], v[12:13], s[54:55]
	;; [unrolled: 6-line block ×5, first 2 shown]
	v_fma_f64 v[219:220], v[199:200], s[24:25], -v[227:228]
	v_add_f64 v[111:112], v[219:220], v[111:112]
	v_mul_f64 v[219:220], v[30:31], s[40:41]
	v_fma_f64 v[215:216], v[197:198], s[24:25], v[219:220]
	v_add_f64 v[109:110], v[215:216], v[109:110]
	v_mul_f64 v[215:216], v[111:112], v[137:138]
	v_mul_f64 v[137:138], v[109:110], v[137:138]
	v_fma_f64 v[18:19], v[109:110], v[135:136], -v[215:216]
	v_mul_f64 v[215:216], v[73:74], s[26:27]
	v_fma_f64 v[16:17], v[111:112], v[135:136], v[137:138]
	v_fma_f64 v[111:112], v[75:76], s[10:11], v[155:156]
	;; [unrolled: 1-line block ×3, first 2 shown]
	v_fma_f64 v[135:136], v[195:196], s[10:11], -v[159:160]
	v_mul_f64 v[137:138], v[30:31], s[28:29]
	buffer_store_dword v16, off, s[60:63], 0 offset:60 ; 4-byte Folded Spill
	buffer_store_dword v17, off, s[60:63], 0 offset:64 ; 4-byte Folded Spill
	;; [unrolled: 1-line block ×4, first 2 shown]
	v_add_f64 v[109:110], v[71:72], v[109:110]
	v_add_f64 v[109:110], v[111:112], v[109:110]
	v_fma_f64 v[111:112], v[8:9], s[22:23], -v[125:126]
	v_add_f64 v[111:112], v[69:70], v[111:112]
	v_add_f64 v[111:112], v[135:136], v[111:112]
	v_fma_f64 v[135:136], v[79:80], s[24:25], v[149:150]
	v_add_f64 v[109:110], v[135:136], v[109:110]
	v_fma_f64 v[135:136], v[207:208], s[24:25], -v[157:158]
	v_add_f64 v[111:112], v[135:136], v[111:112]
	v_fma_f64 v[135:136], v[81:82], s[12:13], v[145:146]
	v_add_f64 v[109:110], v[135:136], v[109:110]
	v_fma_f64 v[135:136], v[209:210], s[12:13], -v[153:154]
	;; [unrolled: 4-line block ×5, first 2 shown]
	v_add_f64 v[111:112], v[135:136], v[111:112]
	v_fma_f64 v[135:136], v[199:200], s[14:15], -v[139:140]
	v_add_f64 v[111:112], v[135:136], v[111:112]
	v_fma_f64 v[135:136], v[197:198], s[14:15], v[137:138]
	v_add_f64 v[109:110], v[135:136], v[109:110]
	v_mul_f64 v[135:136], v[111:112], v[77:78]
	v_mul_f64 v[77:78], v[109:110], v[77:78]
	v_fma_f64 v[18:19], v[109:110], v[83:84], -v[135:136]
	v_fma_f64 v[109:110], v[75:76], s[22:23], v[123:124]
	v_mul_f64 v[135:136], v[4:5], s[34:35]
	v_fma_f64 v[16:17], v[111:112], v[83:84], v[77:78]
	v_mul_f64 v[77:78], v[73:74], s[28:29]
	buffer_store_dword v16, off, s[60:63], 0 offset:88 ; 4-byte Folded Spill
	buffer_store_dword v17, off, s[60:63], 0 offset:92 ; 4-byte Folded Spill
	;; [unrolled: 1-line block ×4, first 2 shown]
	v_fma_f64 v[83:84], v[14:15], s[14:15], v[77:78]
	v_mul_f64 v[18:19], v[251:252], s[28:29]
	v_fma_f64 v[111:112], v[195:196], s[22:23], -v[113:114]
	v_mul_f64 v[16:17], v[253:254], s[38:39]
	v_add_f64 v[83:84], v[71:72], v[83:84]
	v_fma_f64 v[185:186], v[195:196], s[12:13], -v[16:17]
	v_fma_f64 v[16:17], v[195:196], s[12:13], v[16:17]
	v_add_f64 v[83:84], v[109:110], v[83:84]
	v_fma_f64 v[109:110], v[79:80], s[6:7], v[121:122]
	v_add_f64 v[83:84], v[109:110], v[83:84]
	;; [unrolled: 2-line block ×6, first 2 shown]
	v_fma_f64 v[109:110], v[8:9], s[14:15], -v[18:19]
	v_fma_f64 v[18:19], v[8:9], s[14:15], v[18:19]
	v_add_f64 v[109:110], v[69:70], v[109:110]
	v_add_f64 v[18:19], v[69:70], v[18:19]
	;; [unrolled: 1-line block ×3, first 2 shown]
	v_fma_f64 v[111:112], v[207:208], s[6:7], -v[107:108]
	v_add_f64 v[109:110], v[111:112], v[109:110]
	v_fma_f64 v[111:112], v[209:210], s[10:11], -v[101:102]
	v_add_f64 v[109:110], v[111:112], v[109:110]
	;; [unrolled: 2-line block ×6, first 2 shown]
	v_fma_f64 v[111:112], v[197:198], s[12:13], v[20:21]
	v_fma_f64 v[20:21], v[197:198], s[12:13], -v[20:21]
	v_add_f64 v[83:84], v[111:112], v[83:84]
	v_mul_f64 v[111:112], v[109:110], v[103:104]
	v_mul_f64 v[103:104], v[83:84], v[103:104]
	v_fma_f64 v[111:112], v[83:84], v[105:106], -v[111:112]
	v_mul_f64 v[83:84], v[173:174], v[39:40]
	v_mul_f64 v[39:40], v[171:172], v[39:40]
	v_fma_f64 v[109:110], v[109:110], v[105:106], v[103:104]
	v_mul_f64 v[103:104], v[73:74], s[30:31]
	v_fma_f64 v[83:84], v[37:38], v[171:172], -v[83:84]
	v_fma_f64 v[36:37], v[37:38], v[173:174], v[39:40]
	v_mul_f64 v[105:106], v[249:250], s[38:39]
	buffer_store_dword v109, off, s[60:63], 0 offset:160 ; 4-byte Folded Spill
	buffer_store_dword v110, off, s[60:63], 0 offset:164 ; 4-byte Folded Spill
	;; [unrolled: 1-line block ×4, first 2 shown]
	v_fma_f64 v[38:39], v[14:15], s[10:11], v[103:104]
	v_mul_f64 v[73:74], v[73:74], s[34:35]
	v_fma_f64 v[109:110], v[75:76], s[12:13], v[105:106]
	v_add_f64 v[38:39], v[71:72], v[38:39]
	v_add_f64 v[38:39], v[109:110], v[38:39]
	v_mul_f64 v[109:110], v[26:27], s[46:47]
	v_mul_f64 v[26:27], v[26:27], s[30:31]
	v_fma_f64 v[111:112], v[79:80], s[18:19], v[109:110]
	v_add_f64 v[38:39], v[111:112], v[38:39]
	v_mul_f64 v[111:112], v[24:25], s[48:49]
	v_mul_f64 v[24:25], v[24:25], s[40:41]
	v_fma_f64 v[205:206], v[81:82], s[14:15], v[111:112]
	;; [unrolled: 4-line block ×5, first 2 shown]
	v_add_f64 v[38:39], v[201:202], v[38:39]
	v_mul_f64 v[201:202], v[251:252], s[30:31]
	v_fma_f64 v[193:194], v[8:9], s[10:11], -v[201:202]
	v_add_f64 v[193:194], v[69:70], v[193:194]
	v_add_f64 v[185:186], v[185:186], v[193:194]
	v_mul_f64 v[193:194], v[34:35], s[46:47]
	v_mul_f64 v[34:35], v[34:35], s[30:31]
	v_fma_f64 v[181:182], v[207:208], s[18:19], -v[193:194]
	v_add_f64 v[181:182], v[181:182], v[185:186]
	v_mul_f64 v[185:186], v[32:33], s[48:49]
	v_fma_f64 v[183:184], v[209:210], s[14:15], -v[185:186]
	v_add_f64 v[181:182], v[183:184], v[181:182]
	;; [unrolled: 3-line block ×4, first 2 shown]
	v_mul_f64 v[179:180], v[22:23], s[40:41]
	v_mul_f64 v[22:23], v[22:23], s[26:27]
	v_fma_f64 v[175:176], v[221:222], s[24:25], -v[179:180]
	v_add_f64 v[175:176], v[175:176], v[177:178]
	v_mul_f64 v[177:178], v[10:11], s[26:27]
	v_mul_f64 v[10:11], v[10:11], s[36:37]
	v_fma_f64 v[173:174], v[199:200], s[22:23], -v[177:178]
	v_add_f64 v[173:174], v[173:174], v[175:176]
	v_mul_f64 v[175:176], v[30:31], s[26:27]
	v_fma_f64 v[171:172], v[197:198], s[22:23], v[175:176]
	v_add_f64 v[38:39], v[171:172], v[38:39]
	v_mul_f64 v[171:172], v[173:174], v[36:37]
	v_mul_f64 v[36:37], v[38:39], v[36:37]
	v_fma_f64 v[39:40], v[38:39], v[83:84], -v[171:172]
	s_clause 0x3
	buffer_load_dword v171, off, s[60:63], 0 offset:232
	buffer_load_dword v172, off, s[60:63], 0 offset:236
	;; [unrolled: 1-line block ×4, first 2 shown]
	v_fma_f64 v[37:38], v[173:174], v[83:84], v[36:37]
	s_waitcnt vmcnt(2)
	v_mul_f64 v[83:84], v[171:172], v[99:100]
	s_waitcnt vmcnt(0)
	v_mul_f64 v[99:100], v[2:3], v[99:100]
	v_fma_f64 v[83:84], v[97:98], v[2:3], -v[83:84]
	v_fma_f64 v[97:98], v[97:98], v[171:172], v[99:100]
	v_mul_f64 v[99:100], v[249:250], s[42:43]
	v_fma_f64 v[171:172], v[14:15], s[8:9], v[73:74]
	v_mul_f64 v[249:250], v[253:254], s[42:43]
	v_mul_f64 v[2:3], v[0:1], s[38:39]
	;; [unrolled: 1-line block ×3, first 2 shown]
	v_fma_f64 v[173:174], v[75:76], s[6:7], v[99:100]
	v_add_f64 v[171:172], v[71:72], v[171:172]
	v_fma_f64 v[253:254], v[195:196], s[6:7], -v[249:250]
	v_fma_f64 v[30:31], v[197:198], s[18:19], v[0:1]
	v_fma_f64 v[0:1], v[197:198], s[18:19], -v[0:1]
	v_add_f64 v[171:172], v[173:174], v[171:172]
	v_fma_f64 v[173:174], v[79:80], s[10:11], v[26:27]
	v_fma_f64 v[26:27], v[79:80], s[10:11], -v[26:27]
	v_add_f64 v[171:172], v[173:174], v[171:172]
	v_fma_f64 v[173:174], v[81:82], s[24:25], v[24:25]
	v_fma_f64 v[24:25], v[81:82], s[24:25], -v[24:25]
	v_add_f64 v[171:172], v[173:174], v[171:172]
	v_fma_f64 v[173:174], v[85:86], s[14:15], v[12:13]
	v_fma_f64 v[12:13], v[85:86], s[14:15], -v[12:13]
	v_add_f64 v[171:172], v[173:174], v[171:172]
	v_fma_f64 v[173:174], v[89:90], s[12:13], v[6:7]
	v_fma_f64 v[6:7], v[89:90], s[12:13], -v[6:7]
	v_add_f64 v[171:172], v[173:174], v[171:172]
	v_fma_f64 v[173:174], v[189:190], s[22:23], v[4:5]
	v_fma_f64 v[4:5], v[189:190], s[22:23], -v[4:5]
	v_add_f64 v[171:172], v[173:174], v[171:172]
	v_mul_f64 v[173:174], v[251:252], s[34:35]
	v_add_f64 v[30:31], v[30:31], v[171:172]
	v_fma_f64 v[251:252], v[8:9], s[8:9], -v[173:174]
	s_clause 0x1
	buffer_load_dword v171, off, s[60:63], 0 offset:184
	buffer_load_dword v172, off, s[60:63], 0 offset:188
	v_add_f64 v[251:252], v[69:70], v[251:252]
	v_add_f64 v[251:252], v[253:254], v[251:252]
	v_fma_f64 v[253:254], v[207:208], s[10:11], -v[34:35]
	v_add_f64 v[251:252], v[253:254], v[251:252]
	v_mul_f64 v[253:254], v[32:33], s[40:41]
	v_fma_f64 v[32:33], v[209:210], s[24:25], -v[253:254]
	v_add_f64 v[32:33], v[32:33], v[251:252]
	v_mul_f64 v[251:252], v[28:29], s[28:29]
	v_fma_f64 v[28:29], v[213:214], s[14:15], -v[251:252]
	v_add_f64 v[28:29], v[28:29], v[32:33]
	v_fma_f64 v[32:33], v[217:218], s[12:13], -v[2:3]
	v_fma_f64 v[2:3], v[217:218], s[12:13], v[2:3]
	v_add_f64 v[28:29], v[32:33], v[28:29]
	v_fma_f64 v[32:33], v[221:222], s[22:23], -v[22:23]
	v_add_f64 v[28:29], v[32:33], v[28:29]
	v_fma_f64 v[32:33], v[199:200], s[18:19], -v[10:11]
	v_add_f64 v[28:29], v[32:33], v[28:29]
	v_mul_f64 v[32:33], v[28:29], v[97:98]
	v_mul_f64 v[97:98], v[30:31], v[97:98]
	v_fma_f64 v[31:32], v[30:31], v[83:84], -v[32:33]
	v_fma_f64 v[29:30], v[28:29], v[83:84], v[97:98]
	s_clause 0x1
	buffer_load_dword v97, off, s[60:63], 0 offset:176
	buffer_load_dword v98, off, s[60:63], 0 offset:180
	s_waitcnt vmcnt(2)
	v_mul_f64 v[83:84], v[171:172], v[47:48]
	s_waitcnt vmcnt(0)
	v_mul_f64 v[47:48], v[97:98], v[47:48]
	v_fma_f64 v[83:84], v[45:46], v[97:98], -v[83:84]
	v_add_f64 v[97:98], v[71:72], v[187:188]
	v_fma_f64 v[45:46], v[45:46], v[171:172], v[47:48]
	v_fma_f64 v[47:48], v[14:15], s[8:9], -v[73:74]
	v_fma_f64 v[73:74], v[75:76], s[6:7], -v[99:100]
	v_add_f64 v[47:48], v[71:72], v[47:48]
	v_add_f64 v[47:48], v[73:74], v[47:48]
	v_fma_f64 v[73:74], v[8:9], s[12:13], v[163:164]
	v_add_f64 v[26:27], v[26:27], v[47:48]
	v_add_f64 v[73:74], v[69:70], v[73:74]
	;; [unrolled: 1-line block ×5, first 2 shown]
	v_fma_f64 v[12:13], v[195:196], s[6:7], v[249:250]
	v_add_f64 v[4:5], v[4:5], v[6:7]
	v_fma_f64 v[6:7], v[8:9], s[8:9], v[173:174]
	v_add_f64 v[0:1], v[0:1], v[4:5]
	v_add_f64 v[6:7], v[69:70], v[6:7]
	;; [unrolled: 1-line block ×3, first 2 shown]
	v_fma_f64 v[12:13], v[207:208], s[10:11], v[34:35]
	v_add_f64 v[6:7], v[12:13], v[6:7]
	v_fma_f64 v[12:13], v[209:210], s[24:25], v[253:254]
	v_add_f64 v[6:7], v[12:13], v[6:7]
	;; [unrolled: 2-line block ×3, first 2 shown]
	v_add_f64 v[2:3], v[2:3], v[6:7]
	v_fma_f64 v[6:7], v[221:222], s[22:23], v[22:23]
	v_add_f64 v[2:3], v[6:7], v[2:3]
	v_fma_f64 v[6:7], v[199:200], s[18:19], v[10:11]
	v_add_f64 v[2:3], v[6:7], v[2:3]
	v_mul_f64 v[6:7], v[0:1], v[45:46]
	v_mul_f64 v[4:5], v[2:3], v[45:46]
	v_fma_f64 v[45:46], v[2:3], v[83:84], v[6:7]
	v_fma_f64 v[47:48], v[0:1], v[83:84], -v[4:5]
	s_clause 0x13
	buffer_load_dword v4, off, s[60:63], 0 offset:112
	buffer_load_dword v5, off, s[60:63], 0 offset:116
	buffer_load_dword v2, off, s[60:63], 0 offset:104
	buffer_load_dword v3, off, s[60:63], 0 offset:108
	buffer_load_dword v10, off, s[60:63], 0 offset:128
	buffer_load_dword v11, off, s[60:63], 0 offset:132
	buffer_load_dword v6, off, s[60:63], 0 offset:120
	buffer_load_dword v7, off, s[60:63], 0 offset:124
	buffer_load_dword v22, off, s[60:63], 0 offset:136
	buffer_load_dword v23, off, s[60:63], 0 offset:140
	buffer_load_dword v12, off, s[60:63], 0 offset:144
	buffer_load_dword v13, off, s[60:63], 0 offset:148
	buffer_load_dword v26, off, s[60:63], 0 offset:192
	buffer_load_dword v27, off, s[60:63], 0 offset:196
	buffer_load_dword v24, off, s[60:63], 0 offset:200
	buffer_load_dword v25, off, s[60:63], 0 offset:204
	buffer_load_dword v35, off, s[60:63], 0 offset:208
	buffer_load_dword v36, off, s[60:63], 0 offset:212
	buffer_load_dword v33, off, s[60:63], 0 offset:216
	buffer_load_dword v34, off, s[60:63], 0 offset:220
	s_waitcnt vmcnt(18)
	v_mul_f64 v[0:1], v[4:5], v[235:236]
	s_waitcnt vmcnt(16)
	v_fma_f64 v[0:1], v[233:234], v[2:3], -v[0:1]
	v_mul_f64 v[2:3], v[2:3], v[235:236]
	v_fma_f64 v[2:3], v[233:234], v[4:5], v[2:3]
	s_waitcnt vmcnt(14)
	v_mul_f64 v[4:5], v[10:11], v[51:52]
	s_waitcnt vmcnt(12)
	v_fma_f64 v[4:5], v[49:50], v[6:7], -v[4:5]
	v_mul_f64 v[6:7], v[6:7], v[51:52]
	v_fma_f64 v[6:7], v[49:50], v[10:11], v[6:7]
	s_waitcnt vmcnt(10)
	v_mul_f64 v[10:11], v[22:23], v[43:44]
	s_waitcnt vmcnt(8)
	v_fma_f64 v[10:11], v[41:42], v[12:13], v[10:11]
	v_mul_f64 v[12:13], v[12:13], v[43:44]
	s_clause 0x1
	buffer_load_dword v43, off, s[60:63], 0 offset:680
	buffer_load_dword v44, off, s[60:63], 0 offset:684
	v_fma_f64 v[12:13], v[41:42], v[22:23], -v[12:13]
	s_clause 0x1
	buffer_load_dword v41, off, s[60:63], 0 offset:688
	buffer_load_dword v42, off, s[60:63], 0 offset:692
	s_waitcnt vmcnt(10)
	v_mul_f64 v[22:23], v[26:27], v[59:60]
	s_clause 0x3
	buffer_load_dword v51, off, s[60:63], 0 offset:720
	buffer_load_dword v52, off, s[60:63], 0 offset:724
	;; [unrolled: 1-line block ×4, first 2 shown]
	s_waitcnt vmcnt(12)
	v_fma_f64 v[22:23], v[57:58], v[24:25], v[22:23]
	v_mul_f64 v[24:25], v[24:25], v[59:60]
	v_fma_f64 v[59:60], v[14:15], s[12:13], -v[127:128]
	v_fma_f64 v[24:25], v[57:58], v[26:27], -v[24:25]
	s_waitcnt vmcnt(10)
	v_mul_f64 v[26:27], v[35:36], v[55:56]
	v_fma_f64 v[57:58], v[14:15], s[18:19], -v[245:246]
	v_add_f64 v[59:60], v[71:72], v[59:60]
	s_waitcnt vmcnt(8)
	v_fma_f64 v[26:27], v[53:54], v[33:34], v[26:27]
	v_mul_f64 v[33:34], v[33:34], v[55:56]
	v_fma_f64 v[55:56], v[14:15], s[22:23], -v[215:216]
	v_add_f64 v[57:58], v[71:72], v[57:58]
	v_fma_f64 v[33:34], v[53:54], v[35:36], -v[33:34]
	v_fma_f64 v[53:54], v[14:15], s[14:15], -v[77:78]
	v_fma_f64 v[77:78], v[8:9], s[24:25], v[169:170]
	v_add_f64 v[55:56], v[71:72], v[55:56]
	v_add_f64 v[53:54], v[71:72], v[53:54]
	;; [unrolled: 1-line block ×3, first 2 shown]
	s_waitcnt vmcnt(6)
	v_mul_f64 v[35:36], v[43:44], v[63:64]
	s_waitcnt vmcnt(4)
	v_fma_f64 v[35:36], v[61:62], v[41:42], v[35:36]
	v_mul_f64 v[41:42], v[41:42], v[63:64]
	s_clause 0x3
	buffer_load_dword v63, off, s[60:63], 0 offset:752
	buffer_load_dword v64, off, s[60:63], 0 offset:756
	;; [unrolled: 1-line block ×4, first 2 shown]
	v_fma_f64 v[41:42], v[61:62], v[43:44], -v[41:42]
	s_waitcnt vmcnt(6)
	v_mul_f64 v[43:44], v[51:52], v[67:68]
	v_fma_f64 v[61:62], v[14:15], s[24:25], -v[161:162]
	s_waitcnt vmcnt(4)
	v_fma_f64 v[43:44], v[65:66], v[49:50], v[43:44]
	v_mul_f64 v[49:50], v[49:50], v[67:68]
	v_fma_f64 v[67:68], v[8:9], s[18:19], v[129:130]
	v_add_f64 v[61:62], v[71:72], v[61:62]
	v_fma_f64 v[49:50], v[65:66], v[51:52], -v[49:50]
	v_fma_f64 v[51:52], v[14:15], s[10:11], -v[103:104]
	v_fma_f64 v[65:66], v[8:9], s[22:23], v[125:126]
	v_add_f64 v[67:68], v[69:70], v[67:68]
	v_add_f64 v[51:52], v[71:72], v[51:52]
	;; [unrolled: 1-line block ×3, first 2 shown]
	s_waitcnt vmcnt(2)
	v_fma_f64 v[14:15], v[14:15], s[6:7], -v[63:64]
	v_fma_f64 v[63:64], v[8:9], s[10:11], v[201:202]
	s_waitcnt vmcnt(0)
	v_fma_f64 v[8:9], v[8:9], s[6:7], v[83:84]
	v_add_f64 v[83:84], v[69:70], v[165:166]
	v_add_f64 v[14:15], v[71:72], v[14:15]
	;; [unrolled: 1-line block ×4, first 2 shown]
	v_fma_f64 v[69:70], v[75:76], s[12:13], -v[105:106]
	v_add_f64 v[16:17], v[16:17], v[63:64]
	v_fma_f64 v[63:64], v[207:208], s[18:19], v[193:194]
	v_add_f64 v[51:52], v[69:70], v[51:52]
	v_fma_f64 v[69:70], v[79:80], s[18:19], -v[109:110]
	v_add_f64 v[16:17], v[63:64], v[16:17]
	v_fma_f64 v[63:64], v[209:210], s[14:15], v[185:186]
	v_add_f64 v[51:52], v[69:70], v[51:52]
	v_fma_f64 v[69:70], v[81:82], s[14:15], -v[111:112]
	v_add_f64 v[16:17], v[63:64], v[16:17]
	v_fma_f64 v[63:64], v[213:214], s[6:7], v[183:184]
	v_add_f64 v[51:52], v[69:70], v[51:52]
	v_fma_f64 v[69:70], v[85:86], s[6:7], -v[205:206]
	v_add_f64 v[16:17], v[63:64], v[16:17]
	v_fma_f64 v[63:64], v[217:218], s[8:9], v[181:182]
	v_add_f64 v[51:52], v[69:70], v[51:52]
	v_fma_f64 v[69:70], v[89:90], s[8:9], -v[211:212]
	v_add_f64 v[16:17], v[63:64], v[16:17]
	v_fma_f64 v[63:64], v[221:222], s[24:25], v[179:180]
	v_add_f64 v[51:52], v[69:70], v[51:52]
	v_fma_f64 v[69:70], v[189:190], s[24:25], -v[203:204]
	v_add_f64 v[16:17], v[63:64], v[16:17]
	v_fma_f64 v[63:64], v[199:200], s[22:23], v[177:178]
	v_add_f64 v[51:52], v[69:70], v[51:52]
	v_add_f64 v[16:17], v[63:64], v[16:17]
	v_fma_f64 v[63:64], v[197:198], s[22:23], -v[175:176]
	v_add_f64 v[51:52], v[63:64], v[51:52]
	v_fma_f64 v[63:64], v[75:76], s[22:23], -v[123:124]
	;; [unrolled: 2-line block ×7, first 2 shown]
	v_add_f64 v[53:54], v[63:64], v[53:54]
	v_fma_f64 v[63:64], v[195:196], s[22:23], v[113:114]
	v_add_f64 v[20:21], v[20:21], v[53:54]
	v_fma_f64 v[53:54], v[75:76], s[10:11], -v[155:156]
	v_add_f64 v[18:19], v[63:64], v[18:19]
	v_fma_f64 v[63:64], v[207:208], s[6:7], v[107:108]
	v_add_f64 v[53:54], v[53:54], v[55:56]
	v_fma_f64 v[55:56], v[79:80], s[24:25], -v[149:150]
	;; [unrolled: 4-line block ×6, first 2 shown]
	v_add_f64 v[18:19], v[63:64], v[18:19]
	v_fma_f64 v[63:64], v[199:200], s[12:13], v[87:88]
	v_add_f64 v[53:54], v[55:56], v[53:54]
	v_fma_f64 v[55:56], v[195:196], s[10:11], v[159:160]
	;; [unrolled: 2-line block ×3, first 2 shown]
	v_add_f64 v[55:56], v[55:56], v[65:66]
	v_add_f64 v[55:56], v[63:64], v[55:56]
	v_fma_f64 v[63:64], v[209:210], s[12:13], v[153:154]
	v_add_f64 v[55:56], v[63:64], v[55:56]
	v_fma_f64 v[63:64], v[213:214], s[8:9], v[151:152]
	;; [unrolled: 2-line block ×5, first 2 shown]
	v_add_f64 v[55:56], v[63:64], v[55:56]
	v_fma_f64 v[63:64], v[197:198], s[14:15], -v[137:138]
	v_add_f64 v[53:54], v[63:64], v[53:54]
	s_clause 0x1
	buffer_load_dword v63, off, s[60:63], 0 offset:880
	buffer_load_dword v64, off, s[60:63], 0 offset:884
	v_mul_f64 v[91:92], v[53:54], v[10:11]
	s_waitcnt vmcnt(0)
	v_fma_f64 v[63:64], v[75:76], s[8:9], -v[63:64]
	v_add_f64 v[57:58], v[63:64], v[57:58]
	v_fma_f64 v[63:64], v[79:80], s[22:23], -v[167:168]
	v_add_f64 v[57:58], v[63:64], v[57:58]
	;; [unrolled: 2-line block ×6, first 2 shown]
	s_clause 0x3
	buffer_load_dword v63, off, s[60:63], 0 offset:864
	buffer_load_dword v64, off, s[60:63], 0 offset:868
	;; [unrolled: 1-line block ×4, first 2 shown]
	s_waitcnt vmcnt(2)
	v_fma_f64 v[63:64], v[195:196], s[8:9], v[63:64]
	s_waitcnt vmcnt(0)
	v_fma_f64 v[65:66], v[207:208], s[22:23], v[65:66]
	v_add_f64 v[63:64], v[63:64], v[67:68]
	v_add_f64 v[63:64], v[65:66], v[63:64]
	v_fma_f64 v[65:66], v[209:210], s[6:7], v[243:244]
	v_add_f64 v[63:64], v[65:66], v[63:64]
	v_fma_f64 v[65:66], v[213:214], s[12:13], v[237:238]
	v_add_f64 v[63:64], v[65:66], v[63:64]
	v_fma_f64 v[65:66], v[217:218], s[10:11], v[231:232]
	v_add_f64 v[63:64], v[65:66], v[63:64]
	v_fma_f64 v[65:66], v[221:222], s[14:15], v[229:230]
	v_add_f64 v[63:64], v[65:66], v[63:64]
	v_fma_f64 v[65:66], v[199:200], s[24:25], v[227:228]
	v_add_f64 v[63:64], v[65:66], v[63:64]
	v_fma_f64 v[65:66], v[197:198], s[24:25], -v[219:220]
	v_add_f64 v[57:58], v[65:66], v[57:58]
	s_clause 0x1
	buffer_load_dword v65, off, s[60:63], 0 offset:760
	buffer_load_dword v66, off, s[60:63], 0 offset:764
	s_waitcnt vmcnt(0)
	v_fma_f64 v[65:66], v[75:76], s[14:15], -v[65:66]
	v_add_f64 v[59:60], v[65:66], v[59:60]
	s_clause 0x1
	buffer_load_dword v65, off, s[60:63], 0 offset:792
	buffer_load_dword v66, off, s[60:63], 0 offset:796
	s_waitcnt vmcnt(0)
	;; [unrolled: 6-line block ×6, first 2 shown]
	v_fma_f64 v[65:66], v[189:190], s[18:19], -v[65:66]
	v_add_f64 v[59:60], v[65:66], v[59:60]
	s_clause 0x3
	buffer_load_dword v65, off, s[60:63], 0 offset:736
	buffer_load_dword v66, off, s[60:63], 0 offset:740
	;; [unrolled: 1-line block ×4, first 2 shown]
	s_waitcnt vmcnt(2)
	v_fma_f64 v[65:66], v[195:196], s[14:15], v[65:66]
	s_waitcnt vmcnt(0)
	v_fma_f64 v[67:68], v[207:208], s[8:9], v[67:68]
	v_add_f64 v[65:66], v[65:66], v[73:74]
	v_add_f64 v[65:66], v[67:68], v[65:66]
	s_clause 0x1
	buffer_load_dword v67, off, s[60:63], 0 offset:768
	buffer_load_dword v68, off, s[60:63], 0 offset:772
	s_waitcnt vmcnt(0)
	v_fma_f64 v[67:68], v[209:210], s[22:23], v[67:68]
	v_add_f64 v[65:66], v[67:68], v[65:66]
	s_clause 0x1
	buffer_load_dword v67, off, s[60:63], 0 offset:784
	buffer_load_dword v68, off, s[60:63], 0 offset:788
	s_waitcnt vmcnt(0)
	v_fma_f64 v[67:68], v[213:214], s[24:25], v[67:68]
	;; [unrolled: 6-line block ×5, first 2 shown]
	v_add_f64 v[65:66], v[67:68], v[65:66]
	s_clause 0x1
	buffer_load_dword v67, off, s[60:63], 0 offset:840
	buffer_load_dword v68, off, s[60:63], 0 offset:844
	s_waitcnt vmcnt(0)
	v_fma_f64 v[67:68], v[197:198], s[10:11], -v[67:68]
	v_add_f64 v[59:60], v[67:68], v[59:60]
	s_clause 0x5
	buffer_load_dword v67, off, s[60:63], 0 offset:440
	buffer_load_dword v68, off, s[60:63], 0 offset:444
	;; [unrolled: 1-line block ×6, first 2 shown]
	s_waitcnt vmcnt(4)
	v_add_f64 v[67:68], v[83:84], v[67:68]
	s_waitcnt vmcnt(2)
	v_add_f64 v[69:70], v[97:98], v[69:70]
	s_waitcnt vmcnt(0)
	v_fma_f64 v[71:72], v[75:76], s[18:19], -v[71:72]
	v_mul_f64 v[83:84], v[18:19], v[6:7]
	v_add_f64 v[61:62], v[71:72], v[61:62]
	s_clause 0x1
	buffer_load_dword v71, off, s[60:63], 0 offset:472
	buffer_load_dword v72, off, s[60:63], 0 offset:476
	s_waitcnt vmcnt(0)
	v_add_f64 v[67:68], v[67:68], v[71:72]
	s_clause 0x1
	buffer_load_dword v71, off, s[60:63], 0 offset:464
	buffer_load_dword v72, off, s[60:63], 0 offset:468
	s_waitcnt vmcnt(0)
	v_add_f64 v[69:70], v[69:70], v[71:72]
	s_clause 0x1
	buffer_load_dword v71, off, s[60:63], 0 offset:696
	buffer_load_dword v72, off, s[60:63], 0 offset:700
	s_waitcnt vmcnt(0)
	v_fma_f64 v[71:72], v[79:80], s[14:15], -v[71:72]
	v_add_f64 v[61:62], v[71:72], v[61:62]
	s_clause 0x1
	buffer_load_dword v71, off, s[60:63], 0 offset:488
	buffer_load_dword v72, off, s[60:63], 0 offset:492
	s_waitcnt vmcnt(0)
	v_add_f64 v[67:68], v[67:68], v[71:72]
	s_clause 0x1
	buffer_load_dword v71, off, s[60:63], 0 offset:480
	buffer_load_dword v72, off, s[60:63], 0 offset:484
	s_waitcnt vmcnt(0)
	v_add_f64 v[69:70], v[69:70], v[71:72]
	s_clause 0x1
	buffer_load_dword v71, off, s[60:63], 0 offset:704
	buffer_load_dword v72, off, s[60:63], 0 offset:708
	s_waitcnt vmcnt(0)
	v_fma_f64 v[71:72], v[81:82], s[8:9], -v[71:72]
	;; [unrolled: 16-line block ×3, first 2 shown]
	v_add_f64 v[61:62], v[71:72], v[61:62]
	s_clause 0x1
	buffer_load_dword v71, off, s[60:63], 0 offset:536
	buffer_load_dword v72, off, s[60:63], 0 offset:540
	s_waitcnt vmcnt(0)
	v_add_f64 v[67:68], v[67:68], v[71:72]
	s_clause 0x1
	buffer_load_dword v71, off, s[60:63], 0 offset:528
	buffer_load_dword v72, off, s[60:63], 0 offset:532
	s_waitcnt vmcnt(0)
	v_add_f64 v[69:70], v[69:70], v[71:72]
	s_clause 0x3
	buffer_load_dword v71, off, s[60:63], 0 offset:632
	buffer_load_dword v72, off, s[60:63], 0 offset:636
	;; [unrolled: 1-line block ×4, first 2 shown]
	s_waitcnt vmcnt(2)
	v_fma_f64 v[71:72], v[195:196], s[18:19], v[71:72]
	s_waitcnt vmcnt(0)
	v_add_f64 v[67:68], v[67:68], v[73:74]
	s_clause 0x1
	buffer_load_dword v73, off, s[60:63], 0 offset:544
	buffer_load_dword v74, off, s[60:63], 0 offset:548
	v_add_f64 v[71:72], v[71:72], v[77:78]
	s_waitcnt vmcnt(0)
	v_add_f64 v[69:70], v[69:70], v[73:74]
	s_clause 0x1
	buffer_load_dword v73, off, s[60:63], 0 offset:640
	buffer_load_dword v74, off, s[60:63], 0 offset:644
	s_waitcnt vmcnt(0)
	v_fma_f64 v[73:74], v[207:208], s[14:15], v[73:74]
	v_add_f64 v[71:72], v[73:74], v[71:72]
	s_clause 0x1
	buffer_load_dword v73, off, s[60:63], 0 offset:576
	buffer_load_dword v74, off, s[60:63], 0 offset:580
	s_waitcnt vmcnt(0)
	v_add_f64 v[67:68], v[67:68], v[73:74]
	s_clause 0x1
	buffer_load_dword v73, off, s[60:63], 0 offset:584
	buffer_load_dword v74, off, s[60:63], 0 offset:588
	s_waitcnt vmcnt(0)
	v_add_f64 v[69:70], v[69:70], v[73:74]
	s_clause 0x1
	buffer_load_dword v73, off, s[60:63], 0 offset:656
	buffer_load_dword v74, off, s[60:63], 0 offset:660
	s_waitcnt vmcnt(0)
	v_fma_f64 v[73:74], v[209:210], s[8:9], v[73:74]
	v_add_f64 v[71:72], v[73:74], v[71:72]
	s_clause 0x1
	buffer_load_dword v73, off, s[60:63], 0 offset:560
	buffer_load_dword v74, off, s[60:63], 0 offset:564
	s_waitcnt vmcnt(0)
	v_add_f64 v[67:68], v[67:68], v[73:74]
	s_clause 0x1
	buffer_load_dword v73, off, s[60:63], 0 offset:568
	buffer_load_dword v74, off, s[60:63], 0 offset:572
	;; [unrolled: 16-line block ×3, first 2 shown]
	s_waitcnt vmcnt(0)
	v_add_f64 v[69:70], v[69:70], v[73:74]
	s_clause 0x3
	buffer_load_dword v73, off, s[60:63], 0 offset:352
	buffer_load_dword v74, off, s[60:63], 0 offset:356
	;; [unrolled: 1-line block ×4, first 2 shown]
	s_waitcnt vmcnt(2)
	v_fma_f64 v[73:74], v[195:196], s[24:25], v[73:74]
	s_waitcnt vmcnt(0)
	v_fma_f64 v[77:78], v[89:90], s[22:23], -v[77:78]
	v_add_f64 v[8:9], v[73:74], v[8:9]
	v_add_f64 v[61:62], v[77:78], v[61:62]
	s_clause 0x1
	buffer_load_dword v77, off, s[60:63], 0 offset:456
	buffer_load_dword v78, off, s[60:63], 0 offset:460
	s_waitcnt vmcnt(0)
	v_add_f64 v[67:68], v[67:68], v[77:78]
	s_clause 0x1
	buffer_load_dword v77, off, s[60:63], 0 offset:448
	buffer_load_dword v78, off, s[60:63], 0 offset:452
	s_waitcnt vmcnt(0)
	;; [unrolled: 5-line block ×3, first 2 shown]
	v_fma_f64 v[75:76], v[75:76], s[24:25], -v[77:78]
	s_clause 0x3
	buffer_load_dword v77, off, s[60:63], 0 offset:376
	buffer_load_dword v78, off, s[60:63], 0 offset:380
	;; [unrolled: 1-line block ×4, first 2 shown]
	v_add_f64 v[14:15], v[75:76], v[14:15]
	s_waitcnt vmcnt(2)
	v_fma_f64 v[77:78], v[207:208], s[12:13], v[77:78]
	s_waitcnt vmcnt(0)
	v_fma_f64 v[73:74], v[217:218], s[22:23], v[73:74]
	v_add_f64 v[8:9], v[77:78], v[8:9]
	v_add_f64 v[71:72], v[73:74], v[71:72]
	s_clause 0x1
	buffer_load_dword v73, off, s[60:63], 0 offset:424
	buffer_load_dword v74, off, s[60:63], 0 offset:428
	s_waitcnt vmcnt(0)
	v_add_f64 v[67:68], v[67:68], v[73:74]
	s_clause 0x1
	buffer_load_dword v73, off, s[60:63], 0 offset:416
	buffer_load_dword v74, off, s[60:63], 0 offset:420
	s_waitcnt vmcnt(0)
	v_add_f64 v[69:70], v[69:70], v[73:74]
	s_clause 0x5
	buffer_load_dword v73, off, s[60:63], 0 offset:296
	buffer_load_dword v74, off, s[60:63], 0 offset:300
	buffer_load_dword v75, off, s[60:63], 0 offset:384
	buffer_load_dword v76, off, s[60:63], 0 offset:388
	buffer_load_dword v77, off, s[60:63], 0 offset:616
	buffer_load_dword v78, off, s[60:63], 0 offset:620
	s_waitcnt vmcnt(4)
	v_fma_f64 v[73:74], v[79:80], s[12:13], -v[73:74]
	s_waitcnt vmcnt(2)
	v_fma_f64 v[75:76], v[209:210], s[18:19], v[75:76]
	s_waitcnt vmcnt(0)
	v_fma_f64 v[77:78], v[189:190], s[12:13], -v[77:78]
	v_mul_f64 v[79:80], v[51:52], v[2:3]
	v_add_f64 v[14:15], v[73:74], v[14:15]
	v_add_f64 v[8:9], v[75:76], v[8:9]
	;; [unrolled: 1-line block ×3, first 2 shown]
	s_clause 0x1
	buffer_load_dword v77, off, s[60:63], 0 offset:344
	buffer_load_dword v78, off, s[60:63], 0 offset:348
	s_waitcnt vmcnt(0)
	v_add_f64 v[67:68], v[67:68], v[77:78]
	s_clause 0x1
	buffer_load_dword v77, off, s[60:63], 0 offset:328
	buffer_load_dword v78, off, s[60:63], 0 offset:332
	s_waitcnt vmcnt(0)
	v_add_f64 v[69:70], v[69:70], v[77:78]
	s_clause 0x5
	buffer_load_dword v77, off, s[60:63], 0 offset:304
	buffer_load_dword v78, off, s[60:63], 0 offset:308
	;; [unrolled: 1-line block ×6, first 2 shown]
	s_waitcnt vmcnt(4)
	v_fma_f64 v[77:78], v[81:82], s[18:19], -v[77:78]
	s_waitcnt vmcnt(2)
	v_fma_f64 v[73:74], v[213:214], s[22:23], v[73:74]
	s_waitcnt vmcnt(0)
	v_fma_f64 v[75:76], v[221:222], s[12:13], v[75:76]
	v_add_f64 v[14:15], v[77:78], v[14:15]
	v_add_f64 v[8:9], v[73:74], v[8:9]
	;; [unrolled: 1-line block ×3, first 2 shown]
	s_clause 0x1
	buffer_load_dword v75, off, s[60:63], 0 offset:280
	buffer_load_dword v76, off, s[60:63], 0 offset:284
	s_waitcnt vmcnt(0)
	v_add_f64 v[67:68], v[67:68], v[75:76]
	s_clause 0x1
	buffer_load_dword v75, off, s[60:63], 0 offset:272
	buffer_load_dword v76, off, s[60:63], 0 offset:276
	s_waitcnt vmcnt(0)
	v_add_f64 v[69:70], v[69:70], v[75:76]
	s_clause 0x5
	buffer_load_dword v75, off, s[60:63], 0 offset:312
	buffer_load_dword v76, off, s[60:63], 0 offset:316
	;; [unrolled: 1-line block ×6, first 2 shown]
	s_waitcnt vmcnt(4)
	v_fma_f64 v[75:76], v[85:86], s[22:23], -v[75:76]
	s_waitcnt vmcnt(2)
	v_fma_f64 v[77:78], v[217:218], s[14:15], v[77:78]
	s_waitcnt vmcnt(0)
	v_fma_f64 v[73:74], v[199:200], s[6:7], v[73:74]
	v_mul_f64 v[85:86], v[20:21], v[6:7]
	v_fma_f64 v[6:7], v[20:21], v[4:5], -v[83:84]
	v_add_f64 v[14:15], v[75:76], v[14:15]
	v_add_f64 v[8:9], v[77:78], v[8:9]
	;; [unrolled: 1-line block ×3, first 2 shown]
	s_clause 0x1
	buffer_load_dword v73, off, s[60:63], 0 offset:264
	buffer_load_dword v74, off, s[60:63], 0 offset:268
	v_fma_f64 v[4:5], v[18:19], v[4:5], v[85:86]
	s_waitcnt vmcnt(0)
	v_add_f64 v[67:68], v[67:68], v[73:74]
	s_clause 0x1
	buffer_load_dword v73, off, s[60:63], 0 offset:256
	buffer_load_dword v74, off, s[60:63], 0 offset:260
	s_waitcnt vmcnt(0)
	v_add_f64 v[69:70], v[69:70], v[73:74]
	s_clause 0x5
	buffer_load_dword v73, off, s[60:63], 0 offset:320
	buffer_load_dword v74, off, s[60:63], 0 offset:324
	;; [unrolled: 1-line block ×6, first 2 shown]
	s_waitcnt vmcnt(4)
	v_fma_f64 v[73:74], v[89:90], s[14:15], -v[73:74]
	s_waitcnt vmcnt(2)
	v_fma_f64 v[75:76], v[221:222], s[10:11], v[75:76]
	s_waitcnt vmcnt(0)
	v_fma_f64 v[77:78], v[197:198], s[6:7], -v[77:78]
	v_mul_f64 v[89:90], v[55:56], v[10:11]
	v_mul_hi_u32 v10, 0x226b903, v255
	v_add_f64 v[14:15], v[73:74], v[14:15]
	v_mul_f64 v[73:74], v[16:17], v[2:3]
	v_add_f64 v[61:62], v[77:78], v[61:62]
	s_clause 0x1
	buffer_load_dword v77, off, s[60:63], 0 offset:248
	buffer_load_dword v78, off, s[60:63], 0 offset:252
	v_add_f64 v[8:9], v[75:76], v[8:9]
	s_waitcnt vmcnt(0)
	v_add_f64 v[67:68], v[67:68], v[77:78]
	s_clause 0x1
	buffer_load_dword v77, off, s[60:63], 0 offset:240
	buffer_load_dword v78, off, s[60:63], 0 offset:244
	s_waitcnt vmcnt(0)
	v_add_f64 v[69:70], v[69:70], v[77:78]
	s_clause 0x5
	buffer_load_dword v77, off, s[60:63], 0 offset:336
	buffer_load_dword v78, off, s[60:63], 0 offset:340
	;; [unrolled: 1-line block ×6, first 2 shown]
	s_waitcnt vmcnt(4)
	v_fma_f64 v[77:78], v[189:190], s[10:11], -v[77:78]
	s_waitcnt vmcnt(2)
	v_fma_f64 v[81:82], v[199:200], s[8:9], v[2:3]
	s_clause 0x3
	buffer_load_dword v2, off, s[60:63], 0 offset:360
	buffer_load_dword v3, off, s[60:63], 0 offset:364
	;; [unrolled: 1-line block ×4, first 2 shown]
	s_waitcnt vmcnt(4)
	v_mul_f64 v[75:76], v[93:94], v[225:226]
	v_add_f64 v[14:15], v[77:78], v[14:15]
	v_add_f64 v[81:82], v[81:82], v[8:9]
	buffer_load_dword v8, off, s[60:63], 0 offset:76 ; 4-byte Folded Reload
	s_waitcnt vmcnt(3)
	v_fma_f64 v[87:88], v[197:198], s[8:9], -v[2:3]
	v_fma_f64 v[2:3], v[51:52], v[0:1], -v[73:74]
	v_mul_f64 v[51:52], v[65:66], v[26:27]
	v_fma_f64 v[0:1], v[16:17], v[0:1], v[79:80]
	v_mul_f64 v[16:17], v[63:64], v[22:23]
	v_mul_f64 v[26:27], v[59:60], v[26:27]
	s_waitcnt vmcnt(1)
	v_mul_f64 v[77:78], v[18:19], v[225:226]
	v_fma_f64 v[75:76], v[223:224], v[18:19], v[75:76]
	v_mul_f64 v[22:23], v[57:58], v[22:23]
	v_mul_f64 v[79:80], v[67:68], v[43:44]
	;; [unrolled: 1-line block ×5, first 2 shown]
	s_waitcnt vmcnt(0)
	v_mad_u32_u24 v83, 0x121, v10, v8
	v_fma_f64 v[10:11], v[53:54], v[12:13], -v[89:90]
	v_fma_f64 v[18:19], v[59:60], v[33:34], -v[51:52]
	s_clause 0x1
	buffer_load_dword v51, off, s[60:63], 0 offset:4
	buffer_load_dword v52, off, s[60:63], 0 offset:8
	v_add_f64 v[53:54], v[87:88], v[14:15]
	v_fma_f64 v[14:15], v[57:58], v[24:25], -v[16:17]
	v_fma_f64 v[16:17], v[65:66], v[33:34], v[26:27]
	buffer_load_dword v26, off, s[60:63], 0 ; 4-byte Folded Reload
	v_fma_f64 v[8:9], v[55:56], v[12:13], v[91:92]
	v_mad_u64_u32 v[55:56], null, s0, v83, 0
	v_fma_f64 v[12:13], v[63:64], v[24:25], v[22:23]
	v_fma_f64 v[20:21], v[71:72], v[41:42], v[35:36]
	v_add_nc_u32_e32 v57, 17, v83
	v_fma_f64 v[22:23], v[61:62], v[41:42], -v[73:74]
	v_fma_f64 v[41:42], v[223:224], v[93:94], -v[77:78]
	v_add_nc_u32_e32 v58, 34, v83
	v_mov_b32_e32 v25, v56
	v_add_nc_u32_e32 v63, 51, v83
	s_waitcnt vmcnt(1)
	v_mov_b32_e32 v24, v52
	s_waitcnt vmcnt(0)
	v_mad_u64_u32 v[33:34], null, s3, v26, v[24:25]
	v_fma_f64 v[26:27], v[69:70], v[49:50], -v[79:80]
	s_lshl_b64 s[2:3], s[4:5], 4
	s_add_u32 s2, s16, s2
	s_addc_u32 s3, s17, s3
	v_mov_b32_e32 v52, v33
	v_mad_u64_u32 v[34:35], null, s1, v83, v[25:26]
	v_mul_f64 v[35:36], v[81:82], v[75:76]
	v_fma_f64 v[24:25], v[67:68], v[49:50], v[43:44]
	v_mad_u64_u32 v[43:44], null, s0, v57, 0
	v_mul_f64 v[49:50], v[53:54], v[75:76]
	v_mov_b32_e32 v56, v34
	v_lshlrev_b64 v[33:34], 4, v[51:52]
	v_mad_u64_u32 v[51:52], null, s0, v58, 0
	v_mov_b32_e32 v28, v44
	v_add_co_u32 v61, vcc_lo, s2, v33
	v_add_co_ci_u32_e32 v62, vcc_lo, s3, v34, vcc_lo
	v_lshlrev_b64 v[33:34], 4, v[55:56]
	v_mad_u64_u32 v[55:56], null, s1, v57, v[28:29]
	v_mov_b32_e32 v28, v52
	v_fma_f64 v[35:36], v[53:54], v[41:42], -v[35:36]
	v_add_co_u32 v56, vcc_lo, v61, v33
	v_mad_u64_u32 v[58:59], null, s1, v58, v[28:29]
	v_add_co_ci_u32_e32 v57, vcc_lo, v62, v34, vcc_lo
	v_mad_u64_u32 v[59:60], null, s0, v63, 0
	v_add_nc_u32_e32 v53, 0x44, v83
	global_store_dwordx4 v[56:57], v[24:27], off
	v_mov_b32_e32 v44, v55
	v_fma_f64 v[33:34], v[81:82], v[41:42], v[49:50]
	v_add_nc_u32_e32 v54, 0x55, v83
	v_mad_u64_u32 v[27:28], null, s0, v53, 0
	v_mov_b32_e32 v26, v60
	v_lshlrev_b64 v[24:25], 4, v[43:44]
	v_mov_b32_e32 v52, v58
	v_mad_u64_u32 v[49:50], null, s0, v54, 0
	v_add_nc_u32_e32 v55, 0x66, v83
	v_mad_u64_u32 v[43:44], null, s1, v63, v[26:27]
	v_mov_b32_e32 v26, v28
	v_lshlrev_b64 v[41:42], 4, v[51:52]
	v_add_co_u32 v24, vcc_lo, v61, v24
	v_add_co_ci_u32_e32 v25, vcc_lo, v62, v25, vcc_lo
	v_mov_b32_e32 v60, v43
	v_mad_u64_u32 v[43:44], null, s1, v53, v[26:27]
	v_add_co_u32 v41, vcc_lo, v61, v41
	v_mad_u64_u32 v[51:52], null, s0, v55, 0
	v_mov_b32_e32 v26, v50
	v_add_co_ci_u32_e32 v42, vcc_lo, v62, v42, vcc_lo
	v_mov_b32_e32 v28, v43
	global_store_dwordx4 v[24:25], v[33:36], off
	global_store_dwordx4 v[41:42], v[20:23], off
	v_mad_u64_u32 v[22:23], null, s1, v54, v[26:27]
	v_lshlrev_b64 v[20:21], 4, v[59:60]
	v_lshlrev_b64 v[24:25], 4, v[27:28]
	v_mov_b32_e32 v23, v52
	v_add_nc_u32_e32 v26, 0x77, v83
	v_add_nc_u32_e32 v27, 0x99, v83
	v_add_nc_u32_e32 v28, 0xaa, v83
	v_add_co_u32 v20, vcc_lo, v61, v20
	v_mov_b32_e32 v50, v22
	v_mad_u64_u32 v[22:23], null, s1, v55, v[23:24]
	v_add_co_ci_u32_e32 v21, vcc_lo, v62, v21, vcc_lo
	v_add_co_u32 v23, vcc_lo, v61, v24
	v_add_co_ci_u32_e32 v24, vcc_lo, v62, v25, vcc_lo
	global_store_dwordx4 v[20:21], v[16:19], off
	v_mad_u64_u32 v[18:19], null, s0, v26, 0
	v_lshlrev_b64 v[16:17], 4, v[49:50]
	v_mov_b32_e32 v52, v22
	v_add_nc_u32_e32 v25, 0x88, v83
	global_store_dwordx4 v[23:24], v[12:15], off
	v_add_co_u32 v12, vcc_lo, v61, v16
	v_lshlrev_b64 v[15:16], 4, v[51:52]
	v_mad_u64_u32 v[20:21], null, s0, v25, 0
	v_mov_b32_e32 v14, v19
	v_add_co_ci_u32_e32 v13, vcc_lo, v62, v17, vcc_lo
	v_mad_u64_u32 v[22:23], null, s1, v26, v[14:15]
	v_add_co_u32 v14, vcc_lo, v61, v15
	v_add_co_ci_u32_e32 v15, vcc_lo, v62, v16, vcc_lo
	v_mov_b32_e32 v16, v21
	v_mad_u64_u32 v[23:24], null, s0, v27, 0
	global_store_dwordx4 v[12:13], v[8:11], off
	v_mov_b32_e32 v19, v22
	v_mad_u64_u32 v[16:17], null, s1, v25, v[16:17]
	v_mad_u64_u32 v[25:26], null, s0, v28, 0
	v_mov_b32_e32 v8, v24
	global_store_dwordx4 v[14:15], v[4:7], off
	v_lshlrev_b64 v[4:5], 4, v[18:19]
	v_add_nc_u32_e32 v13, 0xbb, v83
	v_mov_b32_e32 v21, v16
	v_mad_u64_u32 v[6:7], null, s1, v27, v[8:9]
	v_mov_b32_e32 v7, v26
	v_add_co_u32 v4, vcc_lo, v61, v4
	v_lshlrev_b64 v[8:9], 4, v[20:21]
	v_add_co_ci_u32_e32 v5, vcc_lo, v62, v5, vcc_lo
	v_mov_b32_e32 v24, v6
	v_add_nc_u32_e32 v15, 0xff, v83
	v_add_nc_u32_e32 v16, 0x110, v83
	v_mad_u64_u32 v[10:11], null, s1, v28, v[7:8]
	v_mad_u64_u32 v[11:12], null, s0, v13, 0
	v_add_co_u32 v6, vcc_lo, v61, v8
	global_store_dwordx4 v[4:5], v[0:3], off
	v_lshlrev_b64 v[1:2], 4, v[23:24]
	v_mov_b32_e32 v26, v10
	v_add_co_ci_u32_e32 v7, vcc_lo, v62, v9, vcc_lo
	v_mov_b32_e32 v0, v12
	v_add_nc_u32_e32 v8, 0xcc, v83
	v_lshlrev_b64 v[3:4], 4, v[25:26]
	global_store_dwordx4 v[6:7], v[45:48], off
	v_add_nc_u32_e32 v10, 0xdd, v83
	v_mad_u64_u32 v[5:6], null, s1, v13, v[0:1]
	v_add_co_u32 v0, vcc_lo, v61, v1
	v_add_co_ci_u32_e32 v1, vcc_lo, v62, v2, vcc_lo
	v_add_co_u32 v2, vcc_lo, v61, v3
	v_add_co_ci_u32_e32 v3, vcc_lo, v62, v4, vcc_lo
	global_store_dwordx4 v[0:1], v[29:32], off
	v_mov_b32_e32 v12, v5
	v_mad_u64_u32 v[4:5], null, s0, v8, 0
	global_store_dwordx4 v[2:3], v[37:40], off
	s_clause 0x3
	buffer_load_dword v17, off, s[60:63], 0 offset:160
	buffer_load_dword v18, off, s[60:63], 0 offset:164
	;; [unrolled: 1-line block ×4, first 2 shown]
	v_lshlrev_b64 v[0:1], 4, v[11:12]
	v_add_nc_u32_e32 v12, 0xee, v83
	v_mad_u64_u32 v[2:3], null, s0, v10, 0
	v_mad_u64_u32 v[6:7], null, s0, v12, 0
	v_add_co_u32 v0, vcc_lo, v61, v0
	v_add_co_ci_u32_e32 v1, vcc_lo, v62, v1, vcc_lo
	v_mad_u64_u32 v[8:9], null, s1, v8, v[5:6]
	v_mad_u64_u32 v[9:10], null, s1, v10, v[3:4]
	v_mov_b32_e32 v3, v7
	v_mad_u64_u32 v[10:11], null, s0, v15, 0
	v_mov_b32_e32 v5, v8
	v_mad_u64_u32 v[12:13], null, s1, v12, v[3:4]
	v_mad_u64_u32 v[13:14], null, s0, v16, 0
	v_mov_b32_e32 v3, v9
	v_lshlrev_b64 v[4:5], 4, v[4:5]
	v_mov_b32_e32 v7, v12
	v_lshlrev_b64 v[2:3], 4, v[2:3]
	v_add_co_u32 v4, vcc_lo, v61, v4
	v_add_co_ci_u32_e32 v5, vcc_lo, v62, v5, vcc_lo
	v_lshlrev_b64 v[6:7], 4, v[6:7]
	s_waitcnt vmcnt(0)
	global_store_dwordx4 v[0:1], v[17:20], off
	v_mov_b32_e32 v0, v11
	v_mad_u64_u32 v[0:1], null, s1, v15, v[0:1]
	v_mov_b32_e32 v1, v14
	v_mad_u64_u32 v[8:9], null, s1, v16, v[1:2]
	v_mov_b32_e32 v11, v0
	v_add_co_u32 v0, vcc_lo, v61, v2
	v_add_co_ci_u32_e32 v1, vcc_lo, v62, v3, vcc_lo
	v_lshlrev_b64 v[2:3], 4, v[10:11]
	v_mov_b32_e32 v14, v8
	v_add_co_u32 v6, vcc_lo, v61, v6
	v_add_co_ci_u32_e32 v7, vcc_lo, v62, v7, vcc_lo
	v_lshlrev_b64 v[8:9], 4, v[13:14]
	s_clause 0x3
	buffer_load_dword v10, off, s[60:63], 0 offset:88
	buffer_load_dword v11, off, s[60:63], 0 offset:92
	;; [unrolled: 1-line block ×4, first 2 shown]
	v_add_co_u32 v2, vcc_lo, v61, v2
	v_add_co_ci_u32_e32 v3, vcc_lo, v62, v3, vcc_lo
	v_add_co_u32 v8, vcc_lo, v61, v8
	v_add_co_ci_u32_e32 v9, vcc_lo, v62, v9, vcc_lo
	s_waitcnt vmcnt(0)
	global_store_dwordx4 v[4:5], v[10:13], off
	s_clause 0x3
	buffer_load_dword v10, off, s[60:63], 0 offset:60
	buffer_load_dword v11, off, s[60:63], 0 offset:64
	buffer_load_dword v12, off, s[60:63], 0 offset:68
	buffer_load_dword v13, off, s[60:63], 0 offset:72
	s_waitcnt vmcnt(0)
	global_store_dwordx4 v[0:1], v[10:13], off
	s_clause 0x3
	buffer_load_dword v10, off, s[60:63], 0 offset:44
	buffer_load_dword v11, off, s[60:63], 0 offset:48
	buffer_load_dword v12, off, s[60:63], 0 offset:52
	buffer_load_dword v13, off, s[60:63], 0 offset:56
	;; [unrolled: 7-line block ×4, first 2 shown]
	s_waitcnt vmcnt(0)
	global_store_dwordx4 v[8:9], v[0:3], off
.LBB0_17:
	s_endpgm
	.section	.rodata,"a",@progbits
	.p2align	6, 0x0
	.amdhsa_kernel fft_rtc_back_len289_factors_17_17_wgs_119_tpt_17_dp_ip_CI_sbcc_twdbase6_3step_dirReg_intrinsicRead
		.amdhsa_group_segment_fixed_size 0
		.amdhsa_private_segment_fixed_size 892
		.amdhsa_kernarg_size 96
		.amdhsa_user_sgpr_count 6
		.amdhsa_user_sgpr_private_segment_buffer 1
		.amdhsa_user_sgpr_dispatch_ptr 0
		.amdhsa_user_sgpr_queue_ptr 0
		.amdhsa_user_sgpr_kernarg_segment_ptr 1
		.amdhsa_user_sgpr_dispatch_id 0
		.amdhsa_user_sgpr_flat_scratch_init 0
		.amdhsa_user_sgpr_private_segment_size 0
		.amdhsa_wavefront_size32 1
		.amdhsa_uses_dynamic_stack 0
		.amdhsa_system_sgpr_private_segment_wavefront_offset 1
		.amdhsa_system_sgpr_workgroup_id_x 1
		.amdhsa_system_sgpr_workgroup_id_y 0
		.amdhsa_system_sgpr_workgroup_id_z 0
		.amdhsa_system_sgpr_workgroup_info 0
		.amdhsa_system_vgpr_workitem_id 0
		.amdhsa_next_free_vgpr 256
		.amdhsa_next_free_sgpr 64
		.amdhsa_reserve_vcc 1
		.amdhsa_reserve_flat_scratch 0
		.amdhsa_float_round_mode_32 0
		.amdhsa_float_round_mode_16_64 0
		.amdhsa_float_denorm_mode_32 3
		.amdhsa_float_denorm_mode_16_64 3
		.amdhsa_dx10_clamp 1
		.amdhsa_ieee_mode 1
		.amdhsa_fp16_overflow 0
		.amdhsa_workgroup_processor_mode 1
		.amdhsa_memory_ordered 1
		.amdhsa_forward_progress 0
		.amdhsa_shared_vgpr_count 0
		.amdhsa_exception_fp_ieee_invalid_op 0
		.amdhsa_exception_fp_denorm_src 0
		.amdhsa_exception_fp_ieee_div_zero 0
		.amdhsa_exception_fp_ieee_overflow 0
		.amdhsa_exception_fp_ieee_underflow 0
		.amdhsa_exception_fp_ieee_inexact 0
		.amdhsa_exception_int_div_zero 0
	.end_amdhsa_kernel
	.text
.Lfunc_end0:
	.size	fft_rtc_back_len289_factors_17_17_wgs_119_tpt_17_dp_ip_CI_sbcc_twdbase6_3step_dirReg_intrinsicRead, .Lfunc_end0-fft_rtc_back_len289_factors_17_17_wgs_119_tpt_17_dp_ip_CI_sbcc_twdbase6_3step_dirReg_intrinsicRead
                                        ; -- End function
	.section	.AMDGPU.csdata,"",@progbits
; Kernel info:
; codeLenInByte = 23448
; NumSgprs: 66
; NumVgprs: 256
; ScratchSize: 892
; MemoryBound: 0
; FloatMode: 240
; IeeeMode: 1
; LDSByteSize: 0 bytes/workgroup (compile time only)
; SGPRBlocks: 8
; VGPRBlocks: 31
; NumSGPRsForWavesPerEU: 66
; NumVGPRsForWavesPerEU: 256
; Occupancy: 4
; WaveLimiterHint : 1
; COMPUTE_PGM_RSRC2:SCRATCH_EN: 1
; COMPUTE_PGM_RSRC2:USER_SGPR: 6
; COMPUTE_PGM_RSRC2:TRAP_HANDLER: 0
; COMPUTE_PGM_RSRC2:TGID_X_EN: 1
; COMPUTE_PGM_RSRC2:TGID_Y_EN: 0
; COMPUTE_PGM_RSRC2:TGID_Z_EN: 0
; COMPUTE_PGM_RSRC2:TIDIG_COMP_CNT: 0
	.text
	.p2alignl 6, 3214868480
	.fill 48, 4, 3214868480
	.type	__hip_cuid_75d80eaf3e0f0af,@object ; @__hip_cuid_75d80eaf3e0f0af
	.section	.bss,"aw",@nobits
	.globl	__hip_cuid_75d80eaf3e0f0af
__hip_cuid_75d80eaf3e0f0af:
	.byte	0                               ; 0x0
	.size	__hip_cuid_75d80eaf3e0f0af, 1

	.ident	"AMD clang version 19.0.0git (https://github.com/RadeonOpenCompute/llvm-project roc-6.4.0 25133 c7fe45cf4b819c5991fe208aaa96edf142730f1d)"
	.section	".note.GNU-stack","",@progbits
	.addrsig
	.addrsig_sym __hip_cuid_75d80eaf3e0f0af
	.amdgpu_metadata
---
amdhsa.kernels:
  - .args:
      - .actual_access:  read_only
        .address_space:  global
        .offset:         0
        .size:           8
        .value_kind:     global_buffer
      - .address_space:  global
        .offset:         8
        .size:           8
        .value_kind:     global_buffer
      - .offset:         16
        .size:           8
        .value_kind:     by_value
      - .actual_access:  read_only
        .address_space:  global
        .offset:         24
        .size:           8
        .value_kind:     global_buffer
      - .actual_access:  read_only
        .address_space:  global
        .offset:         32
        .size:           8
        .value_kind:     global_buffer
      - .offset:         40
        .size:           8
        .value_kind:     by_value
      - .actual_access:  read_only
        .address_space:  global
        .offset:         48
        .size:           8
        .value_kind:     global_buffer
      - .actual_access:  read_only
        .address_space:  global
        .offset:         56
        .size:           8
        .value_kind:     global_buffer
      - .offset:         64
        .size:           4
        .value_kind:     by_value
      - .actual_access:  read_only
        .address_space:  global
        .offset:         72
        .size:           8
        .value_kind:     global_buffer
      - .actual_access:  read_only
        .address_space:  global
        .offset:         80
        .size:           8
        .value_kind:     global_buffer
      - .address_space:  global
        .offset:         88
        .size:           8
        .value_kind:     global_buffer
    .group_segment_fixed_size: 0
    .kernarg_segment_align: 8
    .kernarg_segment_size: 96
    .language:       OpenCL C
    .language_version:
      - 2
      - 0
    .max_flat_workgroup_size: 119
    .name:           fft_rtc_back_len289_factors_17_17_wgs_119_tpt_17_dp_ip_CI_sbcc_twdbase6_3step_dirReg_intrinsicRead
    .private_segment_fixed_size: 892
    .sgpr_count:     66
    .sgpr_spill_count: 0
    .symbol:         fft_rtc_back_len289_factors_17_17_wgs_119_tpt_17_dp_ip_CI_sbcc_twdbase6_3step_dirReg_intrinsicRead.kd
    .uniform_work_group_size: 1
    .uses_dynamic_stack: false
    .vgpr_count:     256
    .vgpr_spill_count: 222
    .wavefront_size: 32
    .workgroup_processor_mode: 1
amdhsa.target:   amdgcn-amd-amdhsa--gfx1030
amdhsa.version:
  - 1
  - 2
...

	.end_amdgpu_metadata
